;; amdgpu-corpus repo=ROCm/rocFFT kind=compiled arch=gfx1100 opt=O3
	.text
	.amdgcn_target "amdgcn-amd-amdhsa--gfx1100"
	.amdhsa_code_object_version 6
	.protected	fft_rtc_back_len1020_factors_2_17_2_3_5_wgs_204_tpt_68_halfLds_dp_op_CI_CI_unitstride_sbrr_C2R_dirReg ; -- Begin function fft_rtc_back_len1020_factors_2_17_2_3_5_wgs_204_tpt_68_halfLds_dp_op_CI_CI_unitstride_sbrr_C2R_dirReg
	.globl	fft_rtc_back_len1020_factors_2_17_2_3_5_wgs_204_tpt_68_halfLds_dp_op_CI_CI_unitstride_sbrr_C2R_dirReg
	.p2align	8
	.type	fft_rtc_back_len1020_factors_2_17_2_3_5_wgs_204_tpt_68_halfLds_dp_op_CI_CI_unitstride_sbrr_C2R_dirReg,@function
fft_rtc_back_len1020_factors_2_17_2_3_5_wgs_204_tpt_68_halfLds_dp_op_CI_CI_unitstride_sbrr_C2R_dirReg: ; @fft_rtc_back_len1020_factors_2_17_2_3_5_wgs_204_tpt_68_halfLds_dp_op_CI_CI_unitstride_sbrr_C2R_dirReg
; %bb.0:
	s_load_b128 s[8:11], s[0:1], 0x0
	v_mul_u32_u24_e32 v1, 0x3c4, v0
	s_clause 0x1
	s_load_b128 s[4:7], s[0:1], 0x58
	s_load_b128 s[16:19], s[0:1], 0x18
	v_mov_b32_e32 v5, 0
	v_lshrrev_b32_e32 v6, 16, v1
	v_mov_b32_e32 v1, 0
	v_mov_b32_e32 v2, 0
	s_delay_alu instid0(VALU_DEP_3) | instskip(NEXT) | instid1(VALU_DEP_2)
	v_mad_u64_u32 v[3:4], null, s15, 3, v[6:7]
	v_dual_mov_b32 v4, v5 :: v_dual_mov_b32 v69, v2
	s_delay_alu instid0(VALU_DEP_1) | instskip(NEXT) | instid1(VALU_DEP_3)
	v_dual_mov_b32 v68, v1 :: v_dual_mov_b32 v73, v4
	v_mov_b32_e32 v72, v3
	s_waitcnt lgkmcnt(0)
	v_cmp_lt_u64_e64 s2, s[10:11], 2
	s_delay_alu instid0(VALU_DEP_1)
	s_and_b32 vcc_lo, exec_lo, s2
	s_cbranch_vccnz .LBB0_8
; %bb.1:
	s_load_b64 s[2:3], s[0:1], 0x10
	v_dual_mov_b32 v1, 0 :: v_dual_mov_b32 v8, v4
	v_dual_mov_b32 v2, 0 :: v_dual_mov_b32 v7, v3
	s_add_u32 s12, s18, 8
	s_addc_u32 s13, s19, 0
	s_add_u32 s14, s16, 8
	s_delay_alu instid0(VALU_DEP_1)
	v_dual_mov_b32 v69, v2 :: v_dual_mov_b32 v68, v1
	s_addc_u32 s15, s17, 0
	s_mov_b64 s[22:23], 1
	s_waitcnt lgkmcnt(0)
	s_add_u32 s20, s2, 8
	s_addc_u32 s21, s3, 0
.LBB0_2:                                ; =>This Inner Loop Header: Depth=1
	s_load_b64 s[24:25], s[20:21], 0x0
                                        ; implicit-def: $vgpr72_vgpr73
	s_mov_b32 s2, exec_lo
	s_waitcnt lgkmcnt(0)
	v_or_b32_e32 v6, s25, v8
	s_delay_alu instid0(VALU_DEP_1)
	v_cmpx_ne_u64_e32 0, v[5:6]
	s_xor_b32 s3, exec_lo, s2
	s_cbranch_execz .LBB0_4
; %bb.3:                                ;   in Loop: Header=BB0_2 Depth=1
	v_cvt_f32_u32_e32 v4, s24
	v_cvt_f32_u32_e32 v6, s25
	s_sub_u32 s2, 0, s24
	s_subb_u32 s26, 0, s25
	s_delay_alu instid0(VALU_DEP_1) | instskip(NEXT) | instid1(VALU_DEP_1)
	v_fmac_f32_e32 v4, 0x4f800000, v6
	v_rcp_f32_e32 v4, v4
	s_waitcnt_depctr 0xfff
	v_mul_f32_e32 v4, 0x5f7ffffc, v4
	s_delay_alu instid0(VALU_DEP_1) | instskip(NEXT) | instid1(VALU_DEP_1)
	v_mul_f32_e32 v6, 0x2f800000, v4
	v_trunc_f32_e32 v6, v6
	s_delay_alu instid0(VALU_DEP_1) | instskip(SKIP_1) | instid1(VALU_DEP_2)
	v_fmac_f32_e32 v4, 0xcf800000, v6
	v_cvt_u32_f32_e32 v6, v6
	v_cvt_u32_f32_e32 v4, v4
	s_delay_alu instid0(VALU_DEP_2) | instskip(NEXT) | instid1(VALU_DEP_2)
	v_mul_lo_u32 v9, s2, v6
	v_mul_hi_u32 v10, s2, v4
	v_mul_lo_u32 v11, s26, v4
	s_delay_alu instid0(VALU_DEP_2) | instskip(SKIP_1) | instid1(VALU_DEP_2)
	v_add_nc_u32_e32 v9, v10, v9
	v_mul_lo_u32 v10, s2, v4
	v_add_nc_u32_e32 v9, v9, v11
	s_delay_alu instid0(VALU_DEP_2) | instskip(NEXT) | instid1(VALU_DEP_2)
	v_mul_hi_u32 v11, v4, v10
	v_mul_lo_u32 v12, v4, v9
	v_mul_hi_u32 v13, v4, v9
	v_mul_hi_u32 v14, v6, v10
	v_mul_lo_u32 v10, v6, v10
	v_mul_hi_u32 v15, v6, v9
	v_mul_lo_u32 v9, v6, v9
	v_add_co_u32 v11, vcc_lo, v11, v12
	v_add_co_ci_u32_e32 v12, vcc_lo, 0, v13, vcc_lo
	s_delay_alu instid0(VALU_DEP_2) | instskip(NEXT) | instid1(VALU_DEP_2)
	v_add_co_u32 v10, vcc_lo, v11, v10
	v_add_co_ci_u32_e32 v10, vcc_lo, v12, v14, vcc_lo
	v_add_co_ci_u32_e32 v11, vcc_lo, 0, v15, vcc_lo
	s_delay_alu instid0(VALU_DEP_2) | instskip(NEXT) | instid1(VALU_DEP_2)
	v_add_co_u32 v9, vcc_lo, v10, v9
	v_add_co_ci_u32_e32 v10, vcc_lo, 0, v11, vcc_lo
	s_delay_alu instid0(VALU_DEP_2) | instskip(NEXT) | instid1(VALU_DEP_2)
	v_add_co_u32 v4, vcc_lo, v4, v9
	v_add_co_ci_u32_e32 v6, vcc_lo, v6, v10, vcc_lo
	s_delay_alu instid0(VALU_DEP_2) | instskip(SKIP_1) | instid1(VALU_DEP_3)
	v_mul_hi_u32 v9, s2, v4
	v_mul_lo_u32 v11, s26, v4
	v_mul_lo_u32 v10, s2, v6
	s_delay_alu instid0(VALU_DEP_1) | instskip(SKIP_1) | instid1(VALU_DEP_2)
	v_add_nc_u32_e32 v9, v9, v10
	v_mul_lo_u32 v10, s2, v4
	v_add_nc_u32_e32 v9, v9, v11
	s_delay_alu instid0(VALU_DEP_2) | instskip(NEXT) | instid1(VALU_DEP_2)
	v_mul_hi_u32 v11, v4, v10
	v_mul_lo_u32 v12, v4, v9
	v_mul_hi_u32 v13, v4, v9
	v_mul_hi_u32 v14, v6, v10
	v_mul_lo_u32 v10, v6, v10
	v_mul_hi_u32 v15, v6, v9
	v_mul_lo_u32 v9, v6, v9
	v_add_co_u32 v11, vcc_lo, v11, v12
	v_add_co_ci_u32_e32 v12, vcc_lo, 0, v13, vcc_lo
	s_delay_alu instid0(VALU_DEP_2) | instskip(NEXT) | instid1(VALU_DEP_2)
	v_add_co_u32 v10, vcc_lo, v11, v10
	v_add_co_ci_u32_e32 v10, vcc_lo, v12, v14, vcc_lo
	v_add_co_ci_u32_e32 v11, vcc_lo, 0, v15, vcc_lo
	s_delay_alu instid0(VALU_DEP_2) | instskip(NEXT) | instid1(VALU_DEP_2)
	v_add_co_u32 v9, vcc_lo, v10, v9
	v_add_co_ci_u32_e32 v10, vcc_lo, 0, v11, vcc_lo
	s_delay_alu instid0(VALU_DEP_2) | instskip(NEXT) | instid1(VALU_DEP_2)
	v_add_co_u32 v4, vcc_lo, v4, v9
	v_add_co_ci_u32_e32 v6, vcc_lo, v6, v10, vcc_lo
	s_delay_alu instid0(VALU_DEP_2) | instskip(SKIP_1) | instid1(VALU_DEP_3)
	v_mul_hi_u32 v15, v7, v4
	v_mad_u64_u32 v[11:12], null, v8, v4, 0
	v_mad_u64_u32 v[9:10], null, v7, v6, 0
	;; [unrolled: 1-line block ×3, first 2 shown]
	s_delay_alu instid0(VALU_DEP_2) | instskip(NEXT) | instid1(VALU_DEP_3)
	v_add_co_u32 v4, vcc_lo, v15, v9
	v_add_co_ci_u32_e32 v6, vcc_lo, 0, v10, vcc_lo
	s_delay_alu instid0(VALU_DEP_2) | instskip(NEXT) | instid1(VALU_DEP_2)
	v_add_co_u32 v4, vcc_lo, v4, v11
	v_add_co_ci_u32_e32 v4, vcc_lo, v6, v12, vcc_lo
	v_add_co_ci_u32_e32 v6, vcc_lo, 0, v14, vcc_lo
	s_delay_alu instid0(VALU_DEP_2) | instskip(NEXT) | instid1(VALU_DEP_2)
	v_add_co_u32 v4, vcc_lo, v4, v13
	v_add_co_ci_u32_e32 v6, vcc_lo, 0, v6, vcc_lo
	s_delay_alu instid0(VALU_DEP_2) | instskip(SKIP_1) | instid1(VALU_DEP_3)
	v_mul_lo_u32 v11, s25, v4
	v_mad_u64_u32 v[9:10], null, s24, v4, 0
	v_mul_lo_u32 v12, s24, v6
	s_delay_alu instid0(VALU_DEP_2) | instskip(NEXT) | instid1(VALU_DEP_2)
	v_sub_co_u32 v9, vcc_lo, v7, v9
	v_add3_u32 v10, v10, v12, v11
	s_delay_alu instid0(VALU_DEP_1) | instskip(NEXT) | instid1(VALU_DEP_1)
	v_sub_nc_u32_e32 v11, v8, v10
	v_subrev_co_ci_u32_e64 v11, s2, s25, v11, vcc_lo
	v_add_co_u32 v12, s2, v4, 2
	s_delay_alu instid0(VALU_DEP_1) | instskip(SKIP_3) | instid1(VALU_DEP_3)
	v_add_co_ci_u32_e64 v13, s2, 0, v6, s2
	v_sub_co_u32 v14, s2, v9, s24
	v_sub_co_ci_u32_e32 v10, vcc_lo, v8, v10, vcc_lo
	v_subrev_co_ci_u32_e64 v11, s2, 0, v11, s2
	v_cmp_le_u32_e32 vcc_lo, s24, v14
	s_delay_alu instid0(VALU_DEP_3) | instskip(SKIP_1) | instid1(VALU_DEP_4)
	v_cmp_eq_u32_e64 s2, s25, v10
	v_cndmask_b32_e64 v14, 0, -1, vcc_lo
	v_cmp_le_u32_e32 vcc_lo, s25, v11
	v_cndmask_b32_e64 v15, 0, -1, vcc_lo
	v_cmp_le_u32_e32 vcc_lo, s24, v9
	;; [unrolled: 2-line block ×3, first 2 shown]
	v_cndmask_b32_e64 v16, 0, -1, vcc_lo
	v_cmp_eq_u32_e32 vcc_lo, s25, v11
	s_delay_alu instid0(VALU_DEP_2) | instskip(SKIP_3) | instid1(VALU_DEP_3)
	v_cndmask_b32_e64 v9, v16, v9, s2
	v_cndmask_b32_e32 v11, v15, v14, vcc_lo
	v_add_co_u32 v14, vcc_lo, v4, 1
	v_add_co_ci_u32_e32 v15, vcc_lo, 0, v6, vcc_lo
	v_cmp_ne_u32_e32 vcc_lo, 0, v11
	s_delay_alu instid0(VALU_DEP_2) | instskip(SKIP_1) | instid1(VALU_DEP_2)
	v_dual_cndmask_b32 v10, v15, v13 :: v_dual_cndmask_b32 v11, v14, v12
	v_cmp_ne_u32_e32 vcc_lo, 0, v9
	v_dual_cndmask_b32 v73, v6, v10 :: v_dual_cndmask_b32 v72, v4, v11
.LBB0_4:                                ;   in Loop: Header=BB0_2 Depth=1
	s_and_not1_saveexec_b32 s2, s3
	s_cbranch_execz .LBB0_6
; %bb.5:                                ;   in Loop: Header=BB0_2 Depth=1
	v_cvt_f32_u32_e32 v4, s24
	s_sub_i32 s3, 0, s24
	v_mov_b32_e32 v73, v5
	s_delay_alu instid0(VALU_DEP_2) | instskip(SKIP_2) | instid1(VALU_DEP_1)
	v_rcp_iflag_f32_e32 v4, v4
	s_waitcnt_depctr 0xfff
	v_mul_f32_e32 v4, 0x4f7ffffe, v4
	v_cvt_u32_f32_e32 v4, v4
	s_delay_alu instid0(VALU_DEP_1) | instskip(NEXT) | instid1(VALU_DEP_1)
	v_mul_lo_u32 v6, s3, v4
	v_mul_hi_u32 v6, v4, v6
	s_delay_alu instid0(VALU_DEP_1) | instskip(NEXT) | instid1(VALU_DEP_1)
	v_add_nc_u32_e32 v4, v4, v6
	v_mul_hi_u32 v4, v7, v4
	s_delay_alu instid0(VALU_DEP_1) | instskip(NEXT) | instid1(VALU_DEP_1)
	v_mul_lo_u32 v6, v4, s24
	v_sub_nc_u32_e32 v6, v7, v6
	s_delay_alu instid0(VALU_DEP_1) | instskip(SKIP_1) | instid1(VALU_DEP_2)
	v_subrev_nc_u32_e32 v10, s24, v6
	v_cmp_le_u32_e32 vcc_lo, s24, v6
	v_dual_cndmask_b32 v6, v6, v10 :: v_dual_add_nc_u32 v9, 1, v4
	s_delay_alu instid0(VALU_DEP_1) | instskip(NEXT) | instid1(VALU_DEP_2)
	v_cndmask_b32_e32 v4, v4, v9, vcc_lo
	v_cmp_le_u32_e32 vcc_lo, s24, v6
	s_delay_alu instid0(VALU_DEP_2) | instskip(NEXT) | instid1(VALU_DEP_1)
	v_add_nc_u32_e32 v9, 1, v4
	v_cndmask_b32_e32 v72, v4, v9, vcc_lo
.LBB0_6:                                ;   in Loop: Header=BB0_2 Depth=1
	s_or_b32 exec_lo, exec_lo, s2
	s_delay_alu instid0(VALU_DEP_1) | instskip(NEXT) | instid1(VALU_DEP_2)
	v_mul_lo_u32 v4, v73, s24
	v_mul_lo_u32 v6, v72, s25
	s_load_b64 s[2:3], s[14:15], 0x0
	v_mad_u64_u32 v[9:10], null, v72, s24, 0
	s_load_b64 s[24:25], s[12:13], 0x0
	s_add_u32 s22, s22, 1
	s_addc_u32 s23, s23, 0
	s_add_u32 s12, s12, 8
	s_addc_u32 s13, s13, 0
	s_add_u32 s14, s14, 8
	s_delay_alu instid0(VALU_DEP_1) | instskip(SKIP_3) | instid1(VALU_DEP_2)
	v_add3_u32 v4, v10, v6, v4
	v_sub_co_u32 v10, vcc_lo, v7, v9
	s_addc_u32 s15, s15, 0
	s_add_u32 s20, s20, 8
	v_sub_co_ci_u32_e32 v4, vcc_lo, v8, v4, vcc_lo
	s_addc_u32 s21, s21, 0
	s_waitcnt lgkmcnt(0)
	s_delay_alu instid0(VALU_DEP_1)
	v_mul_lo_u32 v11, s2, v4
	v_mul_lo_u32 v12, s3, v10
	v_mad_u64_u32 v[6:7], null, s2, v10, v[1:2]
	v_mul_lo_u32 v4, s24, v4
	v_mul_lo_u32 v13, s25, v10
	v_mad_u64_u32 v[8:9], null, s24, v10, v[68:69]
	v_cmp_ge_u64_e64 s2, s[22:23], s[10:11]
	v_add3_u32 v2, v12, v7, v11
	s_delay_alu instid0(VALU_DEP_3) | instskip(NEXT) | instid1(VALU_DEP_4)
	v_dual_mov_b32 v1, v6 :: v_dual_mov_b32 v68, v8
	v_add3_u32 v69, v13, v9, v4
	s_delay_alu instid0(VALU_DEP_4)
	s_and_b32 vcc_lo, exec_lo, s2
	s_cbranch_vccnz .LBB0_8
; %bb.7:                                ;   in Loop: Header=BB0_2 Depth=1
	v_dual_mov_b32 v7, v72 :: v_dual_mov_b32 v8, v73
	s_branch .LBB0_2
.LBB0_8:
	s_load_b64 s[0:1], s[0:1], 0x28
	v_mul_hi_u32 v4, 0xaaaaaaab, v3
	s_lshl_b64 s[10:11], s[10:11], 3
                                        ; implicit-def: $vgpr70
	s_delay_alu instid0(SALU_CYCLE_1) | instskip(SKIP_1) | instid1(VALU_DEP_1)
	s_add_u32 s2, s18, s10
	s_addc_u32 s3, s19, s11
	v_lshrrev_b32_e32 v4, 1, v4
	s_delay_alu instid0(VALU_DEP_1) | instskip(SKIP_1) | instid1(VALU_DEP_2)
	v_lshl_add_u32 v5, v4, 1, v4
	v_mul_hi_u32 v4, 0x3c3c3c4, v0
	v_sub_nc_u32_e32 v3, v3, v5
	s_waitcnt lgkmcnt(0)
	v_cmp_gt_u64_e32 vcc_lo, s[0:1], v[72:73]
	v_cmp_le_u64_e64 s0, s[0:1], v[72:73]
	s_delay_alu instid0(VALU_DEP_1) | instskip(NEXT) | instid1(SALU_CYCLE_1)
	s_and_saveexec_b32 s1, s0
	s_xor_b32 s0, exec_lo, s1
; %bb.9:
	s_delay_alu instid0(VALU_DEP_4) | instskip(NEXT) | instid1(VALU_DEP_1)
	v_mul_u32_u24_e32 v1, 0x44, v4
                                        ; implicit-def: $vgpr4
	v_sub_nc_u32_e32 v70, v0, v1
                                        ; implicit-def: $vgpr0
                                        ; implicit-def: $vgpr1_vgpr2
; %bb.10:
	s_or_saveexec_b32 s1, s0
	s_load_b64 s[2:3], s[2:3], 0x0
	v_mul_u32_u24_e32 v3, 0x3fd, v3
	s_delay_alu instid0(VALU_DEP_1)
	v_lshlrev_b32_e32 v250, 4, v3
	s_xor_b32 exec_lo, exec_lo, s1
	s_cbranch_execz .LBB0_14
; %bb.11:
	s_add_u32 s10, s16, s10
	s_addc_u32 s11, s17, s11
	v_lshlrev_b64 v[1:2], 4, v[1:2]
	s_load_b64 s[10:11], s[10:11], 0x0
	s_waitcnt lgkmcnt(0)
	v_mul_lo_u32 v7, s11, v72
	v_mul_lo_u32 v8, s10, v73
	v_mad_u64_u32 v[5:6], null, s10, v72, 0
	s_delay_alu instid0(VALU_DEP_1) | instskip(SKIP_1) | instid1(VALU_DEP_2)
	v_add3_u32 v6, v6, v8, v7
	v_mul_u32_u24_e32 v7, 0x44, v4
	v_lshlrev_b64 v[4:5], 4, v[5:6]
	s_delay_alu instid0(VALU_DEP_2) | instskip(NEXT) | instid1(VALU_DEP_1)
	v_sub_nc_u32_e32 v70, v0, v7
	v_lshlrev_b32_e32 v64, 4, v70
	s_delay_alu instid0(VALU_DEP_3) | instskip(NEXT) | instid1(VALU_DEP_1)
	v_add_co_u32 v0, s0, s4, v4
	v_add_co_ci_u32_e64 v4, s0, s5, v5, s0
	s_mov_b32 s4, exec_lo
	s_delay_alu instid0(VALU_DEP_2) | instskip(NEXT) | instid1(VALU_DEP_1)
	v_add_co_u32 v0, s0, v0, v1
	v_add_co_ci_u32_e64 v1, s0, v4, v2, s0
	v_add3_u32 v2, 0, v250, v64
	s_delay_alu instid0(VALU_DEP_3) | instskip(NEXT) | instid1(VALU_DEP_1)
	v_add_co_u32 v20, s0, v0, v64
	v_add_co_ci_u32_e64 v21, s0, 0, v1, s0
	s_clause 0x3
	global_load_b128 v[4:7], v[20:21], off
	global_load_b128 v[8:11], v[20:21], off offset:1088
	global_load_b128 v[12:15], v[20:21], off offset:2176
	;; [unrolled: 1-line block ×3, first 2 shown]
	v_add_co_u32 v32, s0, 0x1000, v20
	s_delay_alu instid0(VALU_DEP_1) | instskip(SKIP_1) | instid1(VALU_DEP_1)
	v_add_co_ci_u32_e64 v33, s0, 0, v21, s0
	v_add_co_u32 v48, s0, 0x2000, v20
	v_add_co_ci_u32_e64 v49, s0, 0, v21, s0
	v_add_co_u32 v60, s0, 0x3000, v20
	s_delay_alu instid0(VALU_DEP_1)
	v_add_co_ci_u32_e64 v61, s0, 0, v21, s0
	s_clause 0xa
	global_load_b128 v[20:23], v[32:33], off offset:256
	global_load_b128 v[24:27], v[32:33], off offset:1344
	;; [unrolled: 1-line block ×11, first 2 shown]
	s_waitcnt vmcnt(14)
	ds_store_b128 v2, v[4:7]
	s_waitcnt vmcnt(13)
	ds_store_b128 v2, v[8:11] offset:1088
	s_waitcnt vmcnt(12)
	ds_store_b128 v2, v[12:15] offset:2176
	;; [unrolled: 2-line block ×14, first 2 shown]
	v_cmpx_eq_u32_e32 0x43, v70
	s_cbranch_execz .LBB0_13
; %bb.12:
	v_add_co_u32 v0, s0, 0x3000, v0
	s_delay_alu instid0(VALU_DEP_1)
	v_add_co_ci_u32_e64 v1, s0, 0, v1, s0
	v_mov_b32_e32 v70, 0x43
	global_load_b128 v[4:7], v[0:1], off offset:4032
	s_waitcnt vmcnt(0)
	ds_store_b128 v2, v[4:7] offset:15248
.LBB0_13:
	s_or_b32 exec_lo, exec_lo, s4
.LBB0_14:
	s_delay_alu instid0(SALU_CYCLE_1)
	s_or_b32 exec_lo, exec_lo, s1
	v_lshl_add_u32 v162, v3, 4, 0
	v_lshlrev_b32_e32 v0, 4, v70
	s_waitcnt lgkmcnt(0)
	s_barrier
	buffer_gl0_inv
	s_add_u32 s1, s8, 0x3fa0
	v_add_nc_u32_e32 v253, v162, v0
	v_sub_nc_u32_e32 v10, v162, v0
	s_addc_u32 s4, s9, 0
	s_mov_b32 s5, exec_lo
	ds_load_b64 v[6:7], v253
	ds_load_b64 v[8:9], v10 offset:16320
                                        ; implicit-def: $vgpr4_vgpr5
	s_waitcnt lgkmcnt(0)
	v_add_f64 v[0:1], v[6:7], v[8:9]
	v_add_f64 v[2:3], v[6:7], -v[8:9]
	v_cmpx_ne_u32_e32 0, v70
	s_xor_b32 s5, exec_lo, s5
	s_cbranch_execz .LBB0_16
; %bb.15:
	v_mov_b32_e32 v71, 0
	v_add_f64 v[13:14], v[6:7], v[8:9]
	v_add_f64 v[15:16], v[6:7], -v[8:9]
	s_delay_alu instid0(VALU_DEP_3) | instskip(NEXT) | instid1(VALU_DEP_1)
	v_lshlrev_b64 v[0:1], 4, v[70:71]
	v_add_co_u32 v0, s0, s1, v0
	s_delay_alu instid0(VALU_DEP_1)
	v_add_co_ci_u32_e64 v1, s0, s4, v1, s0
	global_load_b128 v[2:5], v[0:1], off
	ds_load_b64 v[0:1], v10 offset:16328
	ds_load_b64 v[11:12], v253 offset:8
	s_waitcnt lgkmcnt(0)
	v_add_f64 v[6:7], v[0:1], v[11:12]
	v_add_f64 v[0:1], v[11:12], -v[0:1]
	s_waitcnt vmcnt(0)
	v_fma_f64 v[8:9], v[15:16], v[4:5], v[13:14]
	v_fma_f64 v[11:12], -v[15:16], v[4:5], v[13:14]
	s_delay_alu instid0(VALU_DEP_3) | instskip(SKIP_1) | instid1(VALU_DEP_4)
	v_fma_f64 v[13:14], v[6:7], v[4:5], -v[0:1]
	v_fma_f64 v[4:5], v[6:7], v[4:5], v[0:1]
	v_fma_f64 v[0:1], -v[6:7], v[2:3], v[8:9]
	s_delay_alu instid0(VALU_DEP_4) | instskip(NEXT) | instid1(VALU_DEP_4)
	v_fma_f64 v[6:7], v[6:7], v[2:3], v[11:12]
	v_fma_f64 v[8:9], v[15:16], v[2:3], v[13:14]
	s_delay_alu instid0(VALU_DEP_4)
	v_fma_f64 v[2:3], v[15:16], v[2:3], v[4:5]
	v_dual_mov_b32 v4, v70 :: v_dual_mov_b32 v5, v71
	ds_store_b128 v10, v[6:9] offset:16320
.LBB0_16:
	s_and_not1_saveexec_b32 s0, s5
	s_cbranch_execz .LBB0_18
; %bb.17:
	ds_load_b128 v[4:7], v162 offset:8160
	s_waitcnt lgkmcnt(0)
	v_add_f64 v[11:12], v[4:5], v[4:5]
	v_mul_f64 v[13:14], v[6:7], -2.0
	v_mov_b32_e32 v4, 0
	v_mov_b32_e32 v5, 0
	ds_store_b128 v162, v[11:14] offset:8160
.LBB0_18:
	s_or_b32 exec_lo, exec_lo, s0
	v_lshlrev_b64 v[4:5], 4, v[4:5]
	s_delay_alu instid0(VALU_DEP_1) | instskip(NEXT) | instid1(VALU_DEP_1)
	v_add_co_u32 v23, s0, s1, v4
	v_add_co_ci_u32_e64 v24, s0, s4, v5, s0
	s_clause 0x1
	global_load_b128 v[4:7], v[23:24], off offset:1088
	global_load_b128 v[11:14], v[23:24], off offset:2176
	ds_store_b128 v253, v[0:3]
	ds_load_b128 v[0:3], v253 offset:1088
	ds_load_b128 v[15:18], v10 offset:15232
	global_load_b128 v[19:22], v[23:24], off offset:3264
	s_waitcnt lgkmcnt(0)
	v_add_f64 v[8:9], v[0:1], v[15:16]
	v_add_f64 v[25:26], v[17:18], v[2:3]
	v_add_f64 v[15:16], v[0:1], -v[15:16]
	v_add_f64 v[0:1], v[2:3], -v[17:18]
	s_waitcnt vmcnt(2)
	s_delay_alu instid0(VALU_DEP_2) | instskip(NEXT) | instid1(VALU_DEP_2)
	v_fma_f64 v[2:3], v[15:16], v[6:7], v[8:9]
	v_fma_f64 v[17:18], v[25:26], v[6:7], v[0:1]
	v_fma_f64 v[8:9], -v[15:16], v[6:7], v[8:9]
	v_fma_f64 v[27:28], v[25:26], v[6:7], -v[0:1]
	s_delay_alu instid0(VALU_DEP_4) | instskip(NEXT) | instid1(VALU_DEP_4)
	v_fma_f64 v[0:1], -v[25:26], v[4:5], v[2:3]
	v_fma_f64 v[2:3], v[15:16], v[4:5], v[17:18]
	s_delay_alu instid0(VALU_DEP_4) | instskip(NEXT) | instid1(VALU_DEP_4)
	v_fma_f64 v[6:7], v[25:26], v[4:5], v[8:9]
	v_fma_f64 v[8:9], v[15:16], v[4:5], v[27:28]
	ds_store_b128 v253, v[0:3] offset:1088
	ds_store_b128 v10, v[6:9] offset:15232
	ds_load_b128 v[2:5], v253 offset:2176
	ds_load_b128 v[6:9], v10 offset:14144
	v_add_co_u32 v0, s0, 0x1000, v23
	s_delay_alu instid0(VALU_DEP_1)
	v_add_co_ci_u32_e64 v1, s0, 0, v24, s0
	v_cmp_gt_u32_e64 s0, 34, v70
	global_load_b128 v[15:18], v[0:1], off offset:256
	s_waitcnt lgkmcnt(0)
	v_add_f64 v[23:24], v[2:3], v[6:7]
	v_add_f64 v[25:26], v[8:9], v[4:5]
	v_add_f64 v[27:28], v[2:3], -v[6:7]
	v_add_f64 v[2:3], v[4:5], -v[8:9]
	s_waitcnt vmcnt(2)
	s_delay_alu instid0(VALU_DEP_2) | instskip(NEXT) | instid1(VALU_DEP_2)
	v_fma_f64 v[4:5], v[27:28], v[13:14], v[23:24]
	v_fma_f64 v[6:7], v[25:26], v[13:14], v[2:3]
	v_fma_f64 v[8:9], -v[27:28], v[13:14], v[23:24]
	v_fma_f64 v[13:14], v[25:26], v[13:14], -v[2:3]
	s_delay_alu instid0(VALU_DEP_4) | instskip(NEXT) | instid1(VALU_DEP_4)
	v_fma_f64 v[2:3], -v[25:26], v[11:12], v[4:5]
	v_fma_f64 v[4:5], v[27:28], v[11:12], v[6:7]
	s_delay_alu instid0(VALU_DEP_4) | instskip(NEXT) | instid1(VALU_DEP_4)
	v_fma_f64 v[6:7], v[25:26], v[11:12], v[8:9]
	v_fma_f64 v[8:9], v[27:28], v[11:12], v[13:14]
	ds_store_b128 v253, v[2:5] offset:2176
	ds_store_b128 v10, v[6:9] offset:14144
	ds_load_b128 v[2:5], v253 offset:3264
	ds_load_b128 v[6:9], v10 offset:13056
	global_load_b128 v[11:14], v[0:1], off offset:1344
	s_waitcnt lgkmcnt(0)
	v_add_f64 v[23:24], v[2:3], v[6:7]
	v_add_f64 v[25:26], v[8:9], v[4:5]
	v_add_f64 v[27:28], v[2:3], -v[6:7]
	v_add_f64 v[2:3], v[4:5], -v[8:9]
	s_waitcnt vmcnt(2)
	s_delay_alu instid0(VALU_DEP_2) | instskip(NEXT) | instid1(VALU_DEP_2)
	v_fma_f64 v[4:5], v[27:28], v[21:22], v[23:24]
	v_fma_f64 v[6:7], v[25:26], v[21:22], v[2:3]
	v_fma_f64 v[8:9], -v[27:28], v[21:22], v[23:24]
	v_fma_f64 v[21:22], v[25:26], v[21:22], -v[2:3]
	s_delay_alu instid0(VALU_DEP_4) | instskip(NEXT) | instid1(VALU_DEP_4)
	v_fma_f64 v[2:3], -v[25:26], v[19:20], v[4:5]
	v_fma_f64 v[4:5], v[27:28], v[19:20], v[6:7]
	s_delay_alu instid0(VALU_DEP_4) | instskip(NEXT) | instid1(VALU_DEP_4)
	v_fma_f64 v[6:7], v[25:26], v[19:20], v[8:9]
	v_fma_f64 v[8:9], v[27:28], v[19:20], v[21:22]
	ds_store_b128 v253, v[2:5] offset:3264
	ds_store_b128 v10, v[6:9] offset:13056
	ds_load_b128 v[2:5], v253 offset:4352
	ds_load_b128 v[6:9], v10 offset:11968
	;; [unrolled: 22-line block ×3, first 2 shown]
	s_waitcnt lgkmcnt(0)
	v_add_f64 v[15:16], v[2:3], v[6:7]
	v_add_f64 v[17:18], v[8:9], v[4:5]
	v_add_f64 v[23:24], v[2:3], -v[6:7]
	v_add_f64 v[2:3], v[4:5], -v[8:9]
	s_waitcnt vmcnt(1)
	s_delay_alu instid0(VALU_DEP_2) | instskip(NEXT) | instid1(VALU_DEP_2)
	v_fma_f64 v[4:5], v[23:24], v[13:14], v[15:16]
	v_fma_f64 v[6:7], v[17:18], v[13:14], v[2:3]
	v_fma_f64 v[8:9], -v[23:24], v[13:14], v[15:16]
	v_fma_f64 v[13:14], v[17:18], v[13:14], -v[2:3]
	s_delay_alu instid0(VALU_DEP_4) | instskip(NEXT) | instid1(VALU_DEP_4)
	v_fma_f64 v[2:3], -v[17:18], v[11:12], v[4:5]
	v_fma_f64 v[4:5], v[23:24], v[11:12], v[6:7]
	s_delay_alu instid0(VALU_DEP_4) | instskip(NEXT) | instid1(VALU_DEP_4)
	v_fma_f64 v[6:7], v[17:18], v[11:12], v[8:9]
	v_fma_f64 v[8:9], v[23:24], v[11:12], v[13:14]
	ds_store_b128 v253, v[2:5] offset:5440
	ds_store_b128 v10, v[6:9] offset:10880
	ds_load_b128 v[2:5], v253 offset:6528
	ds_load_b128 v[6:9], v10 offset:9792
	s_waitcnt lgkmcnt(0)
	v_add_f64 v[11:12], v[2:3], v[6:7]
	v_add_f64 v[13:14], v[8:9], v[4:5]
	v_add_f64 v[15:16], v[2:3], -v[6:7]
	v_add_f64 v[2:3], v[4:5], -v[8:9]
	s_waitcnt vmcnt(0)
	s_delay_alu instid0(VALU_DEP_2) | instskip(NEXT) | instid1(VALU_DEP_2)
	v_fma_f64 v[4:5], v[15:16], v[21:22], v[11:12]
	v_fma_f64 v[6:7], v[13:14], v[21:22], v[2:3]
	v_fma_f64 v[8:9], -v[15:16], v[21:22], v[11:12]
	v_fma_f64 v[11:12], v[13:14], v[21:22], -v[2:3]
	s_delay_alu instid0(VALU_DEP_4) | instskip(NEXT) | instid1(VALU_DEP_4)
	v_fma_f64 v[2:3], -v[13:14], v[19:20], v[4:5]
	v_fma_f64 v[4:5], v[15:16], v[19:20], v[6:7]
	s_delay_alu instid0(VALU_DEP_4) | instskip(NEXT) | instid1(VALU_DEP_4)
	v_fma_f64 v[6:7], v[13:14], v[19:20], v[8:9]
	v_fma_f64 v[8:9], v[15:16], v[19:20], v[11:12]
	ds_store_b128 v253, v[2:5] offset:6528
	ds_store_b128 v10, v[6:9] offset:9792
	s_and_saveexec_b32 s1, s0
	s_cbranch_execz .LBB0_20
; %bb.19:
	global_load_b128 v[0:3], v[0:1], off offset:3520
	ds_load_b128 v[4:7], v253 offset:7616
	ds_load_b128 v[11:14], v10 offset:8704
	s_waitcnt lgkmcnt(0)
	v_add_f64 v[8:9], v[4:5], v[11:12]
	v_add_f64 v[15:16], v[13:14], v[6:7]
	v_add_f64 v[11:12], v[4:5], -v[11:12]
	v_add_f64 v[4:5], v[6:7], -v[13:14]
	s_waitcnt vmcnt(0)
	s_delay_alu instid0(VALU_DEP_2) | instskip(NEXT) | instid1(VALU_DEP_2)
	v_fma_f64 v[6:7], v[11:12], v[2:3], v[8:9]
	v_fma_f64 v[13:14], v[15:16], v[2:3], v[4:5]
	v_fma_f64 v[8:9], -v[11:12], v[2:3], v[8:9]
	v_fma_f64 v[17:18], v[15:16], v[2:3], -v[4:5]
	s_delay_alu instid0(VALU_DEP_4) | instskip(NEXT) | instid1(VALU_DEP_4)
	v_fma_f64 v[2:3], -v[15:16], v[0:1], v[6:7]
	v_fma_f64 v[4:5], v[11:12], v[0:1], v[13:14]
	s_delay_alu instid0(VALU_DEP_4) | instskip(NEXT) | instid1(VALU_DEP_4)
	v_fma_f64 v[6:7], v[15:16], v[0:1], v[8:9]
	v_fma_f64 v[8:9], v[11:12], v[0:1], v[17:18]
	ds_store_b128 v253, v[2:5] offset:7616
	ds_store_b128 v10, v[6:9] offset:8704
.LBB0_20:
	s_or_b32 exec_lo, exec_lo, s1
	v_lshl_add_u32 v0, v70, 4, 0
	s_waitcnt lgkmcnt(0)
	s_barrier
	buffer_gl0_inv
	v_add_nc_u32_e32 v71, v0, v250
	s_barrier
	buffer_gl0_inv
	v_add_nc_u32_e32 v136, 0x44, v70
	v_add_nc_u32_e32 v147, 0x88, v70
	ds_load_b128 v[0:3], v71 offset:8160
	ds_load_b128 v[8:11], v253
	ds_load_b128 v[16:19], v71 offset:1088
	ds_load_b128 v[4:7], v71 offset:9248
	;; [unrolled: 1-line block ×14, first 2 shown]
	v_add_nc_u32_e32 v140, 0xcc, v70
	v_add_nc_u32_e32 v137, 0x110, v70
	;; [unrolled: 1-line block ×5, first 2 shown]
	s_waitcnt lgkmcnt(14)
	v_add_f64 v[56:57], v[8:9], -v[0:1]
	v_add_f64 v[58:59], v[10:11], -v[2:3]
	s_waitcnt lgkmcnt(12)
	v_add_f64 v[20:21], v[16:17], -v[4:5]
	v_add_f64 v[22:23], v[18:19], -v[6:7]
	;; [unrolled: 3-line block ×8, first 2 shown]
	s_barrier
	buffer_gl0_inv
	v_fma_f64 v[8:9], v[8:9], 2.0, -v[56:57]
	v_fma_f64 v[10:11], v[10:11], 2.0, -v[58:59]
	;; [unrolled: 1-line block ×16, first 2 shown]
	v_lshlrev_b32_e32 v64, 5, v70
	v_lshlrev_b32_e32 v65, 5, v136
	;; [unrolled: 1-line block ×5, first 2 shown]
	v_add3_u32 v64, 0, v64, v250
	v_lshlrev_b32_e32 v75, 5, v143
	v_lshlrev_b32_e32 v76, 5, v142
	v_add3_u32 v65, 0, v65, v250
	v_add3_u32 v66, 0, v66, v250
	v_add3_u32 v67, 0, v67, v250
	v_add3_u32 v74, 0, v74, v250
	v_add3_u32 v75, 0, v75, v250
	v_add3_u32 v76, 0, v76, v250
	ds_store_b128 v64, v[8:11]
	ds_store_b128 v64, v[56:59] offset:16
	ds_store_b128 v65, v[48:51]
	ds_store_b128 v65, v[20:23] offset:16
	;; [unrolled: 2-line block ×7, first 2 shown]
	s_and_saveexec_b32 s1, s0
	s_cbranch_execz .LBB0_22
; %bb.21:
	v_lshlrev_b32_e32 v64, 5, v141
	s_delay_alu instid0(VALU_DEP_1)
	v_add3_u32 v64, 0, v64, v250
	ds_store_b128 v64, v[52:55]
	ds_store_b128 v64, v[60:63] offset:16
.LBB0_22:
	s_or_b32 exec_lo, exec_lo, s1
	v_cmp_gt_u32_e64 s1, 60, v70
	s_waitcnt lgkmcnt(0)
	s_barrier
	buffer_gl0_inv
                                        ; implicit-def: $vgpr66_vgpr67
	s_and_saveexec_b32 s4, s1
	s_cbranch_execz .LBB0_24
; %bb.23:
	ds_load_b128 v[8:11], v253
	ds_load_b128 v[56:59], v71 offset:960
	ds_load_b128 v[48:51], v71 offset:1920
	;; [unrolled: 1-line block ×16, first 2 shown]
.LBB0_24:
	s_or_b32 exec_lo, exec_lo, s4
	v_and_b32_e32 v74, 1, v70
	s_mov_b32 s10, 0x2a9d6da3
	s_mov_b32 s4, 0x75d4884
	;; [unrolled: 1-line block ×4, first 2 shown]
	v_lshlrev_b32_e32 v110, 8, v74
	s_mov_b32 s11, 0xbfe58eea
	s_mov_b32 s5, 0x3fe7a5f6
	;; [unrolled: 1-line block ×4, first 2 shown]
	s_clause 0xf
	global_load_b128 v[74:77], v110, s[8:9]
	global_load_b128 v[78:81], v110, s[8:9] offset:240
	global_load_b128 v[82:85], v110, s[8:9] offset:16
	;; [unrolled: 1-line block ×15, first 2 shown]
	s_mov_b32 s36, 0xeb564b22
	s_mov_b32 s16, 0x3259b75e
	s_mov_b32 s14, 0x6ed5f1bb
	s_mov_b32 s28, 0x6c9a05f6
	s_mov_b32 s37, 0xbfefdd0d
	s_mov_b32 s17, 0x3fb79ee6
	s_mov_b32 s15, 0xbfe348c8
	s_mov_b32 s29, 0xbfe9895b
	s_mov_b32 s18, 0x7faef3
	s_mov_b32 s46, 0xacd6c6b4
	s_mov_b32 s19, 0xbfef7484
	s_mov_b32 s47, 0x3fc7851a
	s_mov_b32 s20, 0xc61f0d01
	s_mov_b32 s34, 0x923c349f
	s_mov_b32 s31, 0xbfc7851a
	s_mov_b32 s21, 0xbfd183b1
	s_mov_b32 s35, 0x3feec746
	s_mov_b32 s30, s46
	s_mov_b32 s22, 0x910ea3b9
	s_mov_b32 s42, 0x4363dd80
	s_mov_b32 s23, 0xbfeb34fa
	s_mov_b32 s43, 0x3fe0d888
	s_mov_b32 s45, 0x3fe58eea
	s_mov_b32 s44, s10
	s_mov_b32 s26, 0x370991
	s_mov_b32 s40, 0x5d8e7cdc
	s_mov_b32 s27, 0x3fedd6d0
	s_mov_b32 s41, 0xbfd71e95
	s_mov_b32 s39, 0x3feca52d
	s_mov_b32 s38, s24
	s_mov_b32 s51, 0x3fd71e95
	s_mov_b32 s49, 0xbfe0d888
	s_mov_b32 s50, s40
	s_mov_b32 s48, s42
	s_waitcnt vmcnt(0) lgkmcnt(0)
	s_barrier
	buffer_gl0_inv
	v_mul_f64 v[110:111], v[56:57], v[76:77]
	v_mul_f64 v[112:113], v[64:65], v[80:81]
	;; [unrolled: 1-line block ×12, first 2 shown]
	v_fma_f64 v[196:197], v[58:59], v[74:75], -v[110:111]
	v_fma_f64 v[58:59], v[66:67], v[78:79], -v[112:113]
	v_mul_f64 v[110:111], v[20:21], v[92:93]
	v_mul_f64 v[112:113], v[52:53], v[96:97]
	v_fma_f64 v[66:67], v[50:51], v[82:83], -v[114:115]
	v_fma_f64 v[62:63], v[62:63], v[86:87], -v[120:121]
	v_fma_f64 v[194:195], v[56:57], v[74:75], v[76:77]
	v_fma_f64 v[50:51], v[64:65], v[78:79], v[80:81]
	v_mul_f64 v[74:75], v[22:23], v[92:93]
	v_mul_f64 v[76:77], v[36:37], v[100:101]
	;; [unrolled: 1-line block ×4, first 2 shown]
	v_fma_f64 v[56:57], v[48:49], v[82:83], v[84:85]
	v_fma_f64 v[48:49], v[60:61], v[86:87], v[88:89]
	v_mul_f64 v[82:83], v[38:39], v[100:101]
	v_mul_f64 v[84:85], v[12:13], v[108:109]
	;; [unrolled: 1-line block ×10, first 2 shown]
	v_add_f64 v[198:199], v[196:197], -v[58:59]
	v_add_f64 v[200:201], v[196:197], v[58:59]
	v_fma_f64 v[64:65], v[22:23], v[90:91], -v[110:111]
	v_fma_f64 v[54:55], v[54:55], v[94:95], -v[112:113]
	v_add_f64 v[78:79], v[66:67], -v[62:63]
	v_add_f64 v[22:23], v[66:67], v[62:63]
	v_add_f64 v[202:203], v[194:195], v[50:51]
	v_add_f64 v[204:205], v[194:195], -v[50:51]
	v_fma_f64 v[60:61], v[20:21], v[90:91], v[74:75]
	v_fma_f64 v[74:75], v[38:39], v[98:99], -v[76:77]
	v_fma_f64 v[52:53], v[52:53], v[94:95], v[80:81]
	v_fma_f64 v[46:47], v[46:47], v[102:103], -v[92:93]
	v_add_f64 v[38:39], v[56:57], v[48:49]
	v_add_f64 v[110:111], v[56:57], -v[48:49]
	v_fma_f64 v[80:81], v[36:37], v[98:99], v[82:83]
	v_fma_f64 v[82:83], v[14:15], v[106:107], -v[84:85]
	v_fma_f64 v[76:77], v[42:43], v[116:117], -v[86:87]
	v_fma_f64 v[44:45], v[44:45], v[102:103], v[88:89]
	v_fma_f64 v[88:89], v[12:13], v[106:107], v[104:105]
	v_fma_f64 v[145:146], v[26:27], v[124:125], -v[108:109]
	v_fma_f64 v[86:87], v[30:31], v[128:129], -v[120:121]
	v_fma_f64 v[84:85], v[40:41], v[116:117], v[118:119]
	v_mul_f64 v[118:119], v[2:3], v[134:135]
	v_mul_f64 v[134:135], v[16:17], v[178:179]
	;; [unrolled: 1-line block ×7, first 2 shown]
	v_add_f64 v[100:101], v[64:65], -v[54:55]
	v_add_f64 v[20:21], v[64:65], v[54:55]
	v_mul_f64 v[214:215], v[78:79], s[36:37]
	v_mul_f64 v[228:229], v[22:23], s[16:17]
	;; [unrolled: 1-line block ×4, first 2 shown]
	v_add_f64 v[36:37], v[60:61], v[52:53]
	v_add_f64 v[114:115], v[60:61], -v[52:53]
	v_add_f64 v[112:113], v[74:75], -v[46:47]
	v_add_f64 v[42:43], v[74:75], v[46:47]
	v_add_f64 v[120:121], v[82:83], -v[76:77]
	v_add_f64 v[26:27], v[80:81], v[44:45]
	;; [unrolled: 2-line block ×3, first 2 shown]
	v_fma_f64 v[40:41], v[16:17], v[176:177], v[178:179]
	v_fma_f64 v[90:91], v[202:203], s[4:5], -v[206:207]
	v_fma_f64 v[92:93], v[204:205], s[10:11], v[208:209]
	v_fma_f64 v[94:95], v[202:203], s[12:13], -v[210:211]
	v_fma_f64 v[96:97], v[204:205], s[24:25], v[212:213]
	v_mul_f64 v[234:235], v[100:101], s[28:29]
	v_mul_f64 v[236:237], v[20:21], s[14:15]
	;; [unrolled: 1-line block ×4, first 2 shown]
	v_fma_f64 v[14:15], v[38:39], s[16:17], -v[214:215]
	v_fma_f64 v[98:99], v[110:111], s[36:37], v[228:229]
	v_fma_f64 v[102:103], v[38:39], s[14:15], -v[251:252]
	v_fma_f64 v[138:139], v[110:111], s[28:29], v[148:149]
	v_mul_f64 v[154:155], v[112:113], s[30:31]
	v_mul_f64 v[164:165], v[42:43], s[18:19]
	;; [unrolled: 1-line block ×7, first 2 shown]
	v_add_f64 v[90:91], v[8:9], v[90:91]
	v_add_f64 v[92:93], v[10:11], v[92:93]
	;; [unrolled: 1-line block ×4, first 2 shown]
	v_fma_f64 v[12:13], v[36:37], s[14:15], -v[234:235]
	v_fma_f64 v[104:105], v[114:115], s[28:29], v[236:237]
	v_fma_f64 v[106:107], v[36:37], s[18:19], -v[150:151]
	v_fma_f64 v[108:109], v[114:115], s[46:47], v[152:153]
	;; [unrolled: 2-line block ×3, first 2 shown]
	v_add_f64 v[14:15], v[14:15], v[90:91]
	v_add_f64 v[98:99], v[98:99], v[92:93]
	;; [unrolled: 1-line block ×4, first 2 shown]
	v_mul_f64 v[138:139], v[4:5], v[184:185]
	v_fma_f64 v[94:95], v[24:25], v[124:125], v[126:127]
	v_fma_f64 v[96:97], v[2:3], v[132:133], -v[158:159]
	v_fma_f64 v[92:93], v[34:35], v[166:167], -v[160:161]
	v_fma_f64 v[90:91], v[28:29], v[128:129], v[130:131]
	v_add_f64 v[24:25], v[88:89], v[84:85]
	v_add_f64 v[126:127], v[88:89], -v[84:85]
	v_add_f64 v[124:125], v[145:146], -v[86:87]
	v_add_f64 v[28:29], v[145:146], v[86:87]
	v_mul_f64 v[158:159], v[120:121], s[44:45]
	v_fma_f64 v[2:3], v[26:27], s[18:19], -v[154:155]
	v_fma_f64 v[34:35], v[122:123], s[30:31], v[164:165]
	v_add_f64 v[12:13], v[12:13], v[14:15]
	v_add_f64 v[14:15], v[104:105], v[98:99]
	;; [unrolled: 1-line block ×4, first 2 shown]
	v_fma_f64 v[106:107], v[0:1], v[132:133], v[118:119]
	v_fma_f64 v[108:109], v[18:19], v[176:177], -v[134:135]
	v_fma_f64 v[104:105], v[6:7], v[182:183], -v[138:139]
	v_fma_f64 v[102:103], v[32:33], v[166:167], v[168:169]
	v_add_f64 v[18:19], v[94:95], v[90:91]
	v_add_f64 v[130:131], v[94:95], -v[90:91]
	v_add_f64 v[128:129], v[96:97], -v[92:93]
	v_add_f64 v[32:33], v[96:97], v[92:93]
	v_mul_f64 v[180:181], v[124:125], s[34:35]
	v_mul_f64 v[184:185], v[28:29], s[20:21]
	;; [unrolled: 1-line block ×4, first 2 shown]
	v_fma_f64 v[0:1], v[24:25], s[22:23], -v[172:173]
	v_fma_f64 v[6:7], v[126:127], s[42:43], v[174:175]
	v_fma_f64 v[138:139], v[24:25], s[4:5], -v[158:159]
	v_fma_f64 v[190:191], v[126:127], s[44:45], v[156:157]
	v_add_f64 v[2:3], v[2:3], v[12:13]
	v_add_f64 v[12:13], v[34:35], v[14:15]
	v_add_f64 v[14:15], v[170:171], v[98:99]
	v_add_f64 v[98:99], v[186:187], v[116:117]
	v_fma_f64 v[116:117], v[4:5], v[182:183], v[188:189]
	v_add_f64 v[132:133], v[108:109], -v[104:105]
	v_add_f64 v[16:17], v[106:107], v[102:103]
	v_add_f64 v[134:135], v[106:107], -v[102:103]
	v_add_f64 v[34:35], v[108:109], v[104:105]
	v_mul_f64 v[186:187], v[128:129], s[38:39]
	v_mul_f64 v[188:189], v[32:33], s[12:13]
	v_mul_f64 v[170:171], v[128:129], s[36:37]
	v_mul_f64 v[176:177], v[32:33], s[16:17]
	v_fma_f64 v[4:5], v[18:19], s[20:21], -v[180:181]
	v_fma_f64 v[216:217], v[130:131], s[34:35], v[184:185]
	v_fma_f64 v[218:219], v[18:19], s[26:27], -v[166:167]
	v_fma_f64 v[220:221], v[130:131], s[40:41], v[168:169]
	v_add_f64 v[0:1], v[0:1], v[2:3]
	v_add_f64 v[2:3], v[6:7], v[12:13]
	;; [unrolled: 1-line block ×5, first 2 shown]
	v_add_f64 v[138:139], v[40:41], -v[116:117]
	v_mul_f64 v[190:191], v[132:133], s[50:51]
	v_mul_f64 v[178:179], v[132:133], s[48:49]
	;; [unrolled: 1-line block ×4, first 2 shown]
	v_fma_f64 v[14:15], v[16:17], s[12:13], -v[186:187]
	v_fma_f64 v[222:223], v[134:135], s[38:39], v[188:189]
	v_fma_f64 v[224:225], v[16:17], s[16:17], -v[170:171]
	v_fma_f64 v[226:227], v[134:135], s[36:37], v[176:177]
	v_add_f64 v[0:1], v[4:5], v[0:1]
	v_add_f64 v[2:3], v[216:217], v[2:3]
	;; [unrolled: 1-line block ×4, first 2 shown]
	v_fma_f64 v[12:13], v[98:99], s[26:27], -v[190:191]
	v_fma_f64 v[218:219], v[98:99], s[22:23], -v[178:179]
	v_fma_f64 v[216:217], v[138:139], s[50:51], v[192:193]
	v_fma_f64 v[220:221], v[138:139], s[48:49], v[182:183]
	v_add_f64 v[0:1], v[14:15], v[0:1]
	v_add_f64 v[2:3], v[222:223], v[2:3]
	;; [unrolled: 1-line block ×4, first 2 shown]
	s_delay_alu instid0(VALU_DEP_4) | instskip(NEXT) | instid1(VALU_DEP_4)
	v_add_f64 v[4:5], v[12:13], v[0:1]
	v_add_f64 v[6:7], v[216:217], v[2:3]
	s_delay_alu instid0(VALU_DEP_4) | instskip(NEXT) | instid1(VALU_DEP_4)
	v_add_f64 v[0:1], v[218:219], v[14:15]
	v_add_f64 v[2:3], v[220:221], v[222:223]
	s_and_saveexec_b32 s33, s1
	s_cbranch_execz .LBB0_26
; %bb.25:
	v_mul_f64 v[12:13], v[204:205], s[24:25]
	v_mul_f64 v[14:15], v[204:205], s[48:49]
	s_mov_b32 s53, 0xbfeec746
	s_mov_b32 s52, s34
	v_mul_f64 v[216:217], v[204:205], s[40:41]
	scratch_store_b64 off, v[236:237], off offset:124 ; 8-byte Folded Spill
	v_dual_mov_b32 v118, v148 :: v_dual_mov_b32 v119, v149
	s_mov_b32 s55, 0x3fefdd0d
	s_mov_b32 s54, s36
	;; [unrolled: 1-line block ×4, first 2 shown]
	s_clause 0x1
	scratch_store_b64 off, v[214:215], off offset:132
	scratch_store_b32 off, v162, off
	v_mul_f64 v[162:163], v[132:133], s[30:31]
	v_add_f64 v[218:219], v[212:213], -v[12:13]
	v_mul_f64 v[12:13], v[202:203], s[12:13]
	v_mul_f64 v[212:213], v[204:205], s[36:37]
	v_fma_f64 v[224:225], v[200:201], s[22:23], v[14:15]
	v_fma_f64 v[226:227], v[200:201], s[22:23], -v[14:15]
	v_mul_f64 v[14:15], v[198:199], s[30:31]
	v_fma_f64 v[236:237], v[200:201], s[26:27], v[216:217]
	v_fma_f64 v[246:247], v[200:201], s[26:27], -v[216:217]
	v_add_f64 v[220:221], v[12:13], v[210:211]
	v_mul_f64 v[12:13], v[204:205], s[10:11]
	v_mul_f64 v[210:211], v[204:205], s[28:29]
	v_add_f64 v[244:245], v[10:11], v[224:225]
	v_fma_f64 v[216:217], v[202:203], s[18:19], -v[14:15]
	v_fma_f64 v[238:239], v[202:203], s[18:19], v[14:15]
	v_add_f64 v[14:15], v[10:11], v[196:197]
	scratch_store_b64 off, v[232:233], off offset:100 ; 8-byte Folded Spill
	v_fma_f64 v[232:233], v[200:201], s[16:17], v[212:213]
	v_add_f64 v[208:209], v[208:209], -v[12:13]
	v_mul_f64 v[12:13], v[202:203], s[4:5]
	v_add_f64 v[148:149], v[8:9], v[216:217]
	scratch_store_b64 off, v[14:15], off offset:44 ; 8-byte Folded Spill
	v_add_f64 v[14:15], v[8:9], v[194:195]
	v_add_f64 v[206:207], v[12:13], v[206:207]
	v_mul_f64 v[12:13], v[204:205], s[30:31]
	v_mul_f64 v[204:205], v[204:205], s[52:53]
	s_delay_alu instid0(VALU_DEP_2) | instskip(NEXT) | instid1(VALU_DEP_2)
	v_fma_f64 v[222:223], v[200:201], s[18:19], v[12:13]
	v_fma_f64 v[248:249], v[200:201], s[20:21], v[204:205]
	v_fma_f64 v[214:215], v[200:201], s[20:21], -v[204:205]
	v_mul_f64 v[204:205], v[198:199], s[28:29]
	v_fma_f64 v[12:13], v[200:201], s[18:19], -v[12:13]
	v_add_f64 v[196:197], v[10:11], v[222:223]
	s_delay_alu instid0(VALU_DEP_3) | instskip(SKIP_3) | instid1(VALU_DEP_4)
	v_fma_f64 v[136:137], v[202:203], s[14:15], v[204:205]
	v_fma_f64 v[254:255], v[202:203], s[14:15], -v[204:205]
	v_dual_mov_b32 v205, v153 :: v_dual_mov_b32 v204, v152
	v_mul_f64 v[152:153], v[132:133], s[54:55]
	v_add_f64 v[194:195], v[8:9], v[136:137]
	v_add_f64 v[136:137], v[10:11], v[232:233]
	s_clause 0x1
	scratch_store_b64 off, v[228:229], off offset:116
	scratch_store_b64 off, v[230:231], off offset:92
	v_fma_f64 v[228:229], v[200:201], s[14:15], v[210:211]
	v_fma_f64 v[230:231], v[200:201], s[14:15], -v[210:211]
	v_mul_f64 v[210:211], v[198:199], s[36:37]
	v_add_f64 v[232:233], v[8:9], v[206:207]
	v_dual_mov_b32 v207, v159 :: v_dual_mov_b32 v206, v158
	v_mul_f64 v[158:159], v[134:135], s[48:49]
	scratch_store_b64 off, v[136:137], off offset:36 ; 8-byte Folded Spill
	v_add_f64 v[160:161], v[10:11], v[228:229]
	v_add_f64 v[228:229], v[8:9], v[220:221]
	v_fma_f64 v[140:141], v[202:203], s[16:17], -v[210:211]
	v_fma_f64 v[210:211], v[202:203], s[16:17], v[210:211]
	v_add_f64 v[216:217], v[10:11], v[230:231]
	v_add_f64 v[230:231], v[10:11], v[208:209]
	;; [unrolled: 1-line block ×4, first 2 shown]
	scratch_store_b64 off, v[160:161], off offset:84 ; 8-byte Folded Spill
	v_add_f64 v[160:161], v[8:9], v[254:255]
	v_add_f64 v[222:223], v[8:9], v[210:211]
	v_mul_f64 v[140:141], v[114:115], s[48:49]
	v_dual_mov_b32 v255, v63 :: v_dual_mov_b32 v254, v62
	v_mul_f64 v[62:63], v[138:139], s[30:31]
	scratch_store_b64 off, v[136:137], off offset:28 ; 8-byte Folded Spill
	v_add_f64 v[136:137], v[10:11], v[236:237]
	s_clause 0x1
	scratch_store_b64 off, v[234:235], off offset:108
	scratch_store_b64 off, v[14:15], off offset:52
	v_fma_f64 v[234:235], v[200:201], s[16:17], -v[212:213]
	v_mul_f64 v[212:213], v[198:199], s[40:41]
	v_mul_f64 v[200:201], v[198:199], s[48:49]
	;; [unrolled: 1-line block ×3, first 2 shown]
	v_add_f64 v[236:237], v[10:11], v[246:247]
	v_mul_f64 v[246:247], v[110:111], s[50:51]
	v_add_f64 v[14:15], v[10:11], v[12:13]
	v_add_f64 v[12:13], v[8:9], v[238:239]
	scratch_store_b64 off, v[160:161], off offset:76 ; 8-byte Folded Spill
	v_mul_f64 v[160:161], v[128:129], s[48:49]
	scratch_store_b64 off, v[136:137], off offset:12 ; 8-byte Folded Spill
	v_add_f64 v[224:225], v[10:11], v[234:235]
	v_fma_f64 v[142:143], v[202:203], s[26:27], -v[212:213]
	v_fma_f64 v[240:241], v[202:203], s[22:23], -v[200:201]
	v_fma_f64 v[200:201], v[202:203], s[22:23], v[200:201]
	s_delay_alu instid0(VALU_DEP_3)
	v_add_f64 v[136:137], v[8:9], v[142:143]
	scratch_store_b64 off, v[145:146], off offset:20 ; 8-byte Folded Spill
	v_fma_f64 v[144:145], v[202:203], s[26:27], v[212:213]
	v_fma_f64 v[146:147], v[202:203], s[20:21], -v[198:199]
	v_fma_f64 v[198:199], v[202:203], s[20:21], v[198:199]
	v_add_f64 v[242:243], v[8:9], v[240:241]
	v_add_f64 v[240:241], v[10:11], v[226:227]
	;; [unrolled: 1-line block ×4, first 2 shown]
	v_fma_f64 v[142:143], v[20:21], s[22:23], v[140:141]
	v_dual_mov_b32 v203, v151 :: v_dual_mov_b32 v202, v150
	v_mul_f64 v[150:151], v[138:139], s[54:55]
	v_fma_f64 v[140:141], v[20:21], s[22:23], -v[140:141]
	v_dual_mov_b32 v213, v59 :: v_dual_mov_b32 v212, v58
	v_mul_f64 v[58:59], v[124:125], s[28:29]
	scratch_store_b64 off, v[136:137], off offset:4 ; 8-byte Folded Spill
	v_add_f64 v[136:137], v[10:11], v[248:249]
	v_add_f64 v[234:235], v[8:9], v[144:145]
	v_mul_f64 v[248:249], v[78:79], s[50:51]
	v_add_f64 v[218:219], v[8:9], v[198:199]
	scratch_store_b64 off, v[136:137], off offset:68 ; 8-byte Folded Spill
	v_add_f64 v[136:137], v[8:9], v[146:147]
	v_fma_f64 v[8:9], v[22:23], s[26:27], v[246:247]
	v_fma_f64 v[10:11], v[38:39], s[26:27], -v[248:249]
	scratch_store_b64 off, v[136:137], off offset:60 ; 8-byte Folded Spill
	v_add_f64 v[8:9], v[8:9], v[196:197]
	v_add_f64 v[10:11], v[10:11], v[148:149]
	s_delay_alu instid0(VALU_DEP_2) | instskip(SKIP_1) | instid1(VALU_DEP_1)
	v_add_f64 v[8:9], v[142:143], v[8:9]
	v_mul_f64 v[142:143], v[100:101], s[48:49]
	v_fma_f64 v[144:145], v[36:37], s[22:23], -v[142:143]
	s_delay_alu instid0(VALU_DEP_1) | instskip(SKIP_1) | instid1(VALU_DEP_1)
	v_add_f64 v[10:11], v[144:145], v[10:11]
	v_mul_f64 v[144:145], v[122:123], s[44:45]
	v_fma_f64 v[146:147], v[42:43], s[4:5], v[144:145]
	s_delay_alu instid0(VALU_DEP_1) | instskip(SKIP_1) | instid1(VALU_DEP_1)
	v_add_f64 v[8:9], v[146:147], v[8:9]
	v_mul_f64 v[146:147], v[112:113], s[44:45]
	v_fma_f64 v[148:149], v[26:27], s[4:5], -v[146:147]
	s_delay_alu instid0(VALU_DEP_1) | instskip(SKIP_1) | instid1(VALU_DEP_1)
	v_add_f64 v[10:11], v[148:149], v[10:11]
	v_mul_f64 v[148:149], v[126:127], s[28:29]
	v_fma_f64 v[196:197], v[30:31], s[14:15], v[148:149]
	s_delay_alu instid0(VALU_DEP_1) | instskip(SKIP_1) | instid1(VALU_DEP_1)
	;; [unrolled: 8-line block ×4, first 2 shown]
	v_add_f64 v[8:9], v[136:137], v[8:9]
	v_mul_f64 v[136:137], v[128:129], s[52:53]
	v_fma_f64 v[200:201], v[16:17], s[20:21], -v[136:137]
	v_fma_f64 v[136:137], v[16:17], s[20:21], v[136:137]
	s_delay_alu instid0(VALU_DEP_2) | instskip(SKIP_1) | instid1(VALU_DEP_1)
	v_add_f64 v[200:201], v[200:201], v[10:11]
	v_fma_f64 v[10:11], v[34:35], s[16:17], v[150:151]
	v_add_f64 v[10:11], v[10:11], v[8:9]
	v_fma_f64 v[8:9], v[98:99], s[16:17], -v[152:153]
	s_delay_alu instid0(VALU_DEP_1) | instskip(SKIP_2) | instid1(VALU_DEP_2)
	v_add_f64 v[8:9], v[8:9], v[200:201]
	v_fma_f64 v[200:201], v[22:23], s[26:27], -v[246:247]
	v_mul_f64 v[246:247], v[128:129], s[44:45]
	v_add_f64 v[14:15], v[200:201], v[14:15]
	v_fma_f64 v[200:201], v[38:39], s[26:27], v[248:249]
	v_mul_f64 v[248:249], v[138:139], s[52:53]
	s_delay_alu instid0(VALU_DEP_3) | instskip(NEXT) | instid1(VALU_DEP_3)
	v_add_f64 v[14:15], v[140:141], v[14:15]
	v_add_f64 v[12:13], v[200:201], v[12:13]
	v_fma_f64 v[140:141], v[36:37], s[22:23], v[142:143]
	v_mul_f64 v[142:143], v[78:79], s[38:39]
	s_delay_alu instid0(VALU_DEP_2) | instskip(SKIP_1) | instid1(VALU_DEP_3)
	v_add_f64 v[12:13], v[140:141], v[12:13]
	v_fma_f64 v[140:141], v[42:43], s[4:5], -v[144:145]
	v_fma_f64 v[144:145], v[38:39], s[12:13], -v[142:143]
	v_fma_f64 v[142:143], v[38:39], s[12:13], v[142:143]
	s_delay_alu instid0(VALU_DEP_3) | instskip(SKIP_4) | instid1(VALU_DEP_4)
	v_add_f64 v[14:15], v[140:141], v[14:15]
	v_fma_f64 v[140:141], v[26:27], s[4:5], v[146:147]
	v_mul_f64 v[146:147], v[114:115], s[36:37]
	v_add_f64 v[144:145], v[144:145], v[242:243]
	v_add_f64 v[142:143], v[142:143], v[238:239]
	;; [unrolled: 1-line block ×3, first 2 shown]
	v_fma_f64 v[140:141], v[30:31], s[14:15], -v[148:149]
	v_fma_f64 v[148:149], v[20:21], s[16:17], v[146:147]
	s_delay_alu instid0(VALU_DEP_2) | instskip(SKIP_1) | instid1(VALU_DEP_1)
	v_add_f64 v[14:15], v[140:141], v[14:15]
	v_fma_f64 v[140:141], v[24:25], s[14:15], v[196:197]
	v_add_f64 v[12:13], v[140:141], v[12:13]
	v_fma_f64 v[140:141], v[28:29], s[12:13], -v[198:199]
	s_delay_alu instid0(VALU_DEP_1) | instskip(SKIP_1) | instid1(VALU_DEP_1)
	v_add_f64 v[14:15], v[140:141], v[14:15]
	v_fma_f64 v[140:141], v[18:19], s[12:13], v[214:215]
	v_add_f64 v[12:13], v[140:141], v[12:13]
	v_fma_f64 v[140:141], v[32:33], s[20:21], -v[210:211]
	s_delay_alu instid0(VALU_DEP_2) | instskip(NEXT) | instid1(VALU_DEP_2)
	v_add_f64 v[12:13], v[136:137], v[12:13]
	v_add_f64 v[14:15], v[140:141], v[14:15]
	v_fma_f64 v[136:137], v[34:35], s[16:17], -v[150:151]
	v_fma_f64 v[140:141], v[98:99], s[16:17], v[152:153]
	s_delay_alu instid0(VALU_DEP_2) | instskip(SKIP_1) | instid1(VALU_DEP_3)
	v_add_f64 v[14:15], v[136:137], v[14:15]
	v_mul_f64 v[136:137], v[110:111], s[38:39]
	v_add_f64 v[12:13], v[140:141], v[12:13]
	s_delay_alu instid0(VALU_DEP_2) | instskip(SKIP_1) | instid1(VALU_DEP_2)
	v_fma_f64 v[140:141], v[22:23], s[12:13], v[136:137]
	v_fma_f64 v[136:137], v[22:23], s[12:13], -v[136:137]
	v_add_f64 v[140:141], v[140:141], v[244:245]
	s_delay_alu instid0(VALU_DEP_2) | instskip(NEXT) | instid1(VALU_DEP_2)
	v_add_f64 v[136:137], v[136:137], v[240:241]
	v_add_f64 v[140:141], v[148:149], v[140:141]
	v_mul_f64 v[148:149], v[100:101], s[36:37]
	s_delay_alu instid0(VALU_DEP_1) | instskip(NEXT) | instid1(VALU_DEP_1)
	v_fma_f64 v[150:151], v[36:37], s[16:17], -v[148:149]
	v_add_f64 v[144:145], v[150:151], v[144:145]
	v_mul_f64 v[150:151], v[122:123], s[56:57]
	s_delay_alu instid0(VALU_DEP_1) | instskip(NEXT) | instid1(VALU_DEP_1)
	v_fma_f64 v[152:153], v[42:43], s[14:15], v[150:151]
	v_add_f64 v[140:141], v[152:153], v[140:141]
	v_mul_f64 v[152:153], v[112:113], s[56:57]
	s_delay_alu instid0(VALU_DEP_1) | instskip(NEXT) | instid1(VALU_DEP_1)
	v_fma_f64 v[196:197], v[26:27], s[14:15], -v[152:153]
	v_add_f64 v[144:145], v[196:197], v[144:145]
	v_mul_f64 v[196:197], v[126:127], s[40:41]
	s_delay_alu instid0(VALU_DEP_1) | instskip(NEXT) | instid1(VALU_DEP_1)
	v_fma_f64 v[198:199], v[30:31], s[26:27], v[196:197]
	;; [unrolled: 8-line block ×4, first 2 shown]
	v_add_f64 v[140:141], v[242:243], v[140:141]
	v_fma_f64 v[242:243], v[16:17], s[4:5], -v[246:247]
	s_delay_alu instid0(VALU_DEP_1) | instskip(SKIP_1) | instid1(VALU_DEP_1)
	v_add_f64 v[144:145], v[242:243], v[144:145]
	v_fma_f64 v[242:243], v[34:35], s[20:21], v[248:249]
	v_add_f64 v[244:245], v[242:243], v[140:141]
	v_mul_f64 v[140:141], v[132:133], s[52:53]
	s_delay_alu instid0(VALU_DEP_1) | instskip(SKIP_1) | instid1(VALU_DEP_2)
	v_fma_f64 v[242:243], v[98:99], s[20:21], -v[140:141]
	v_fma_f64 v[140:141], v[98:99], s[20:21], v[140:141]
	v_add_f64 v[242:243], v[242:243], v[144:145]
	v_fma_f64 v[144:145], v[20:21], s[16:17], -v[146:147]
	s_delay_alu instid0(VALU_DEP_1)
	v_add_f64 v[136:137], v[144:145], v[136:137]
	v_fma_f64 v[144:145], v[36:37], s[16:17], v[148:149]
	scratch_load_b64 v[148:149], off, off offset:124 ; 8-byte Folded Reload
	v_add_f64 v[142:143], v[144:145], v[142:143]
	v_fma_f64 v[144:145], v[42:43], s[14:15], -v[150:151]
	scratch_load_b64 v[150:151], off, off offset:108 ; 8-byte Folded Reload
	v_add_f64 v[136:137], v[144:145], v[136:137]
	v_fma_f64 v[144:145], v[26:27], s[14:15], v[152:153]
	v_mul_f64 v[152:153], v[26:27], s[18:19]
	s_delay_alu instid0(VALU_DEP_2) | instskip(SKIP_2) | instid1(VALU_DEP_4)
	v_add_f64 v[142:143], v[144:145], v[142:143]
	v_fma_f64 v[144:145], v[30:31], s[26:27], -v[196:197]
	v_mul_f64 v[196:197], v[114:115], s[24:25]
	v_add_f64 v[152:153], v[152:153], v[154:155]
	v_mul_f64 v[154:155], v[126:127], s[42:43]
	s_delay_alu instid0(VALU_DEP_4)
	v_add_f64 v[136:137], v[144:145], v[136:137]
	v_fma_f64 v[144:145], v[24:25], s[26:27], v[198:199]
	v_fma_f64 v[146:147], v[20:21], s[12:13], -v[196:197]
	v_mul_f64 v[198:199], v[100:101], s[24:25]
	v_add_f64 v[154:155], v[174:175], -v[154:155]
	v_mul_f64 v[174:175], v[18:19], s[20:21]
	v_add_f64 v[142:143], v[144:145], v[142:143]
	v_fma_f64 v[144:145], v[28:29], s[18:19], -v[200:201]
	v_mul_f64 v[200:201], v[122:123], s[36:37]
	s_delay_alu instid0(VALU_DEP_4) | instskip(SKIP_1) | instid1(VALU_DEP_4)
	v_add_f64 v[174:175], v[174:175], v[180:181]
	v_mul_f64 v[180:181], v[130:131], s[48:49]
	v_add_f64 v[136:137], v[144:145], v[136:137]
	v_fma_f64 v[144:145], v[18:19], s[18:19], v[210:211]
	v_mul_f64 v[210:211], v[112:113], s[36:37]
	s_delay_alu instid0(VALU_DEP_2) | instskip(SKIP_2) | instid1(VALU_DEP_2)
	v_add_f64 v[142:143], v[144:145], v[142:143]
	v_fma_f64 v[144:145], v[32:33], s[4:5], -v[214:215]
	v_mul_f64 v[214:215], v[126:127], s[52:53]
	v_add_f64 v[136:137], v[144:145], v[136:137]
	v_fma_f64 v[144:145], v[16:17], s[4:5], v[246:247]
	v_mul_f64 v[246:247], v[120:121], s[52:53]
	s_delay_alu instid0(VALU_DEP_2) | instskip(SKIP_2) | instid1(VALU_DEP_3)
	v_add_f64 v[142:143], v[144:145], v[142:143]
	v_fma_f64 v[144:145], v[34:35], s[20:21], -v[248:249]
	v_mul_f64 v[248:249], v[130:131], s[28:29]
	v_add_f64 v[238:239], v[140:141], v[142:143]
	s_delay_alu instid0(VALU_DEP_3) | instskip(SKIP_2) | instid1(VALU_DEP_2)
	v_add_f64 v[240:241], v[144:145], v[136:137]
	v_mul_f64 v[136:137], v[110:111], s[10:11]
	v_mul_f64 v[144:145], v[78:79], s[10:11]
	v_fma_f64 v[140:141], v[22:23], s[4:5], -v[136:137]
	s_delay_alu instid0(VALU_DEP_2) | instskip(NEXT) | instid1(VALU_DEP_2)
	v_fma_f64 v[142:143], v[38:39], s[4:5], v[144:145]
	v_add_f64 v[140:141], v[140:141], v[236:237]
	s_delay_alu instid0(VALU_DEP_2) | instskip(NEXT) | instid1(VALU_DEP_2)
	v_add_f64 v[142:143], v[142:143], v[234:235]
	v_add_f64 v[140:141], v[146:147], v[140:141]
	v_fma_f64 v[146:147], v[36:37], s[12:13], v[198:199]
	s_delay_alu instid0(VALU_DEP_1) | instskip(SKIP_1) | instid1(VALU_DEP_1)
	v_add_f64 v[142:143], v[146:147], v[142:143]
	v_fma_f64 v[146:147], v[42:43], s[16:17], -v[200:201]
	v_add_f64 v[140:141], v[146:147], v[140:141]
	v_fma_f64 v[146:147], v[26:27], s[16:17], v[210:211]
	s_delay_alu instid0(VALU_DEP_1) | instskip(SKIP_1) | instid1(VALU_DEP_1)
	v_add_f64 v[142:143], v[146:147], v[142:143]
	v_fma_f64 v[146:147], v[30:31], s[20:21], -v[214:215]
	;; [unrolled: 5-line block ×5, first 2 shown]
	v_add_f64 v[236:237], v[146:147], v[140:141]
	v_fma_f64 v[140:141], v[98:99], s[18:19], v[162:163]
	scratch_load_b64 v[146:147], off, off offset:132 ; 8-byte Folded Reload
	v_add_f64 v[234:235], v[140:141], v[142:143]
	scratch_load_b64 v[142:143], off, off offset:116 ; 8-byte Folded Reload
	v_mul_f64 v[140:141], v[110:111], s[36:37]
	s_waitcnt vmcnt(0)
	s_delay_alu instid0(VALU_DEP_1) | instskip(SKIP_1) | instid1(VALU_DEP_2)
	v_add_f64 v[140:141], v[142:143], -v[140:141]
	v_mul_f64 v[142:143], v[38:39], s[16:17]
	v_add_f64 v[140:141], v[140:141], v[230:231]
	s_delay_alu instid0(VALU_DEP_2) | instskip(SKIP_1) | instid1(VALU_DEP_2)
	v_add_f64 v[142:143], v[142:143], v[146:147]
	v_mul_f64 v[146:147], v[114:115], s[28:29]
	v_add_f64 v[142:143], v[142:143], v[232:233]
	s_delay_alu instid0(VALU_DEP_2) | instskip(SKIP_1) | instid1(VALU_DEP_2)
	v_add_f64 v[146:147], v[148:149], -v[146:147]
	v_mul_f64 v[148:149], v[36:37], s[14:15]
	v_add_f64 v[140:141], v[146:147], v[140:141]
	s_delay_alu instid0(VALU_DEP_2) | instskip(SKIP_2) | instid1(VALU_DEP_3)
	v_add_f64 v[148:149], v[148:149], v[150:151]
	v_mul_f64 v[150:151], v[122:123], s[30:31]
	v_mul_f64 v[146:147], v[134:135], s[38:39]
	v_add_f64 v[142:143], v[148:149], v[142:143]
	s_delay_alu instid0(VALU_DEP_3) | instskip(SKIP_1) | instid1(VALU_DEP_4)
	v_add_f64 v[150:151], v[164:165], -v[150:151]
	v_mul_f64 v[164:165], v[24:25], s[22:23]
	v_add_f64 v[146:147], v[188:189], -v[146:147]
	v_mul_f64 v[148:149], v[16:17], s[12:13]
	v_mul_f64 v[188:189], v[138:139], s[44:45]
	v_add_f64 v[142:143], v[152:153], v[142:143]
	v_add_f64 v[140:141], v[150:151], v[140:141]
	;; [unrolled: 1-line block ×3, first 2 shown]
	v_mul_f64 v[172:173], v[130:131], s[34:35]
	v_mul_f64 v[150:151], v[138:139], s[50:51]
	v_add_f64 v[148:149], v[148:149], v[186:187]
	v_mul_f64 v[152:153], v[98:99], s[26:27]
	v_mul_f64 v[186:187], v[128:129], s[56:57]
	v_add_f64 v[140:141], v[154:155], v[140:141]
	v_add_f64 v[142:143], v[164:165], v[142:143]
	v_add_f64 v[172:173], v[184:185], -v[172:173]
	v_add_f64 v[150:151], v[192:193], -v[150:151]
	v_mul_f64 v[154:155], v[122:123], s[34:35]
	v_add_f64 v[152:153], v[152:153], v[190:191]
	v_mul_f64 v[164:165], v[126:127], s[44:45]
	v_mul_f64 v[184:185], v[134:135], s[56:57]
	;; [unrolled: 1-line block ×4, first 2 shown]
	v_add_f64 v[142:143], v[174:175], v[142:143]
	v_add_f64 v[140:141], v[172:173], v[140:141]
	v_mul_f64 v[172:173], v[24:25], s[4:5]
	v_mul_f64 v[174:175], v[130:131], s[40:41]
	v_add_f64 v[156:157], v[156:157], -v[164:165]
	v_mul_f64 v[164:165], v[26:27], s[20:21]
	v_add_f64 v[142:143], v[148:149], v[142:143]
	v_add_f64 v[140:141], v[146:147], v[140:141]
	;; [unrolled: 1-line block ×3, first 2 shown]
	v_add_f64 v[168:169], v[168:169], -v[174:175]
	v_mul_f64 v[174:175], v[18:19], s[26:27]
	v_add_f64 v[146:147], v[152:153], v[142:143]
	v_add_f64 v[148:149], v[150:151], v[140:141]
	v_mul_f64 v[140:141], v[110:111], s[28:29]
	v_mul_f64 v[142:143], v[38:39], s[14:15]
	;; [unrolled: 1-line block ×4, first 2 shown]
	v_add_f64 v[166:167], v[174:175], v[166:167]
	v_mul_f64 v[174:175], v[112:113], s[50:51]
	v_add_f64 v[140:141], v[118:119], -v[140:141]
	scratch_load_b64 v[118:119], off, off offset:100 ; 8-byte Folded Reload
	v_add_f64 v[142:143], v[142:143], v[251:252]
	v_add_f64 v[150:151], v[204:205], -v[150:151]
	v_add_f64 v[152:153], v[152:153], v[202:203]
	v_dual_mov_b32 v252, v51 :: v_dual_mov_b32 v251, v50
	v_mul_f64 v[50:51], v[138:139], s[28:29]
	v_add_f64 v[140:141], v[140:141], v[226:227]
	v_add_f64 v[142:143], v[142:143], v[228:229]
	s_delay_alu instid0(VALU_DEP_2) | instskip(SKIP_1) | instid1(VALU_DEP_3)
	v_add_f64 v[140:141], v[150:151], v[140:141]
	v_mul_f64 v[150:151], v[134:135], s[36:37]
	v_add_f64 v[142:143], v[152:153], v[142:143]
	v_mul_f64 v[152:153], v[16:17], s[16:17]
	s_delay_alu instid0(VALU_DEP_3) | instskip(SKIP_1) | instid1(VALU_DEP_3)
	v_add_f64 v[150:151], v[176:177], -v[150:151]
	v_mul_f64 v[176:177], v[126:127], s[24:25]
	v_add_f64 v[152:153], v[152:153], v[170:171]
	v_mul_f64 v[170:171], v[100:101], s[34:35]
	s_waitcnt vmcnt(0)
	v_add_f64 v[154:155], v[118:119], -v[154:155]
	scratch_load_b64 v[118:119], off, off offset:92 ; 8-byte Folded Reload
	v_add_f64 v[140:141], v[154:155], v[140:141]
	v_mul_f64 v[154:155], v[138:139], s[48:49]
	v_mul_f64 v[138:139], v[138:139], s[38:39]
	s_delay_alu instid0(VALU_DEP_3) | instskip(SKIP_1) | instid1(VALU_DEP_4)
	v_add_f64 v[140:141], v[156:157], v[140:141]
	v_mul_f64 v[156:157], v[98:99], s[22:23]
	v_add_f64 v[154:155], v[182:183], -v[154:155]
	v_mul_f64 v[182:183], v[124:125], s[48:49]
	s_delay_alu instid0(VALU_DEP_4) | instskip(NEXT) | instid1(VALU_DEP_4)
	v_add_f64 v[140:141], v[168:169], v[140:141]
	v_add_f64 v[156:157], v[156:157], v[178:179]
	v_mul_f64 v[168:169], v[78:79], s[30:31]
	v_mul_f64 v[178:179], v[120:121], s[24:25]
	s_delay_alu instid0(VALU_DEP_4)
	v_add_f64 v[140:141], v[150:151], v[140:141]
	s_waitcnt vmcnt(0)
	v_add_f64 v[164:165], v[164:165], v[118:119]
	v_dual_mov_b32 v119, v45 :: v_dual_mov_b32 v118, v44
	v_dual_mov_b32 v44, v46 :: v_dual_mov_b32 v45, v47
	;; [unrolled: 1-line block ×4, first 2 shown]
	v_mul_f64 v[66:67], v[132:133], s[28:29]
	v_mul_f64 v[132:133], v[132:133], s[38:39]
	v_add_f64 v[142:143], v[164:165], v[142:143]
	v_mul_f64 v[164:165], v[110:111], s[30:31]
	s_delay_alu instid0(VALU_DEP_2) | instskip(SKIP_1) | instid1(VALU_DEP_2)
	v_add_f64 v[142:143], v[172:173], v[142:143]
	v_mul_f64 v[172:173], v[122:123], s[50:51]
	v_add_f64 v[142:143], v[166:167], v[142:143]
	v_mul_f64 v[166:167], v[114:115], s[34:35]
	s_delay_alu instid0(VALU_DEP_2) | instskip(SKIP_1) | instid1(VALU_DEP_3)
	v_add_f64 v[150:151], v[152:153], v[142:143]
	v_add_f64 v[142:143], v[154:155], v[140:141]
	v_fma_f64 v[152:153], v[20:21], s[20:21], -v[166:167]
	v_fma_f64 v[154:155], v[36:37], s[20:21], v[170:171]
	s_delay_alu instid0(VALU_DEP_4) | instskip(SKIP_1) | instid1(VALU_DEP_1)
	v_add_f64 v[140:141], v[156:157], v[150:151]
	v_fma_f64 v[150:151], v[22:23], s[18:19], -v[164:165]
	v_add_f64 v[150:151], v[150:151], v[224:225]
	v_mul_f64 v[224:225], v[78:79], s[42:43]
	v_mul_f64 v[78:79], v[78:79], s[34:35]
	s_delay_alu instid0(VALU_DEP_3) | instskip(SKIP_1) | instid1(VALU_DEP_1)
	v_add_f64 v[150:151], v[152:153], v[150:151]
	v_fma_f64 v[152:153], v[38:39], s[18:19], v[168:169]
	v_add_f64 v[152:153], v[152:153], v[222:223]
	v_mul_f64 v[222:223], v[122:123], s[24:25]
	v_mul_f64 v[122:123], v[122:123], s[48:49]
	s_delay_alu instid0(VALU_DEP_3) | instskip(SKIP_1) | instid1(VALU_DEP_1)
	v_add_f64 v[152:153], v[154:155], v[152:153]
	v_fma_f64 v[154:155], v[42:43], s[26:27], -v[172:173]
	v_add_f64 v[150:151], v[154:155], v[150:151]
	v_fma_f64 v[154:155], v[26:27], s[26:27], v[174:175]
	s_delay_alu instid0(VALU_DEP_1) | instskip(SKIP_1) | instid1(VALU_DEP_1)
	v_add_f64 v[152:153], v[154:155], v[152:153]
	v_fma_f64 v[154:155], v[30:31], s[12:13], -v[176:177]
	v_add_f64 v[150:151], v[154:155], v[150:151]
	v_fma_f64 v[154:155], v[24:25], s[12:13], v[178:179]
	s_delay_alu instid0(VALU_DEP_1) | instskip(SKIP_1) | instid1(VALU_DEP_1)
	;; [unrolled: 5-line block ×5, first 2 shown]
	v_add_f64 v[150:151], v[150:151], v[154:155]
	v_fma_f64 v[154:155], v[22:23], s[22:23], -v[192:193]
	v_add_f64 v[154:155], v[154:155], v[220:221]
	v_mul_f64 v[220:221], v[114:115], s[44:45]
	v_mul_f64 v[114:115], v[114:115], s[40:41]
	s_delay_alu instid0(VALU_DEP_2) | instskip(NEXT) | instid1(VALU_DEP_1)
	v_fma_f64 v[156:157], v[20:21], s[4:5], -v[220:221]
	v_add_f64 v[154:155], v[156:157], v[154:155]
	v_fma_f64 v[156:157], v[42:43], s[12:13], -v[222:223]
	s_delay_alu instid0(VALU_DEP_1) | instskip(SKIP_1) | instid1(VALU_DEP_1)
	v_add_f64 v[154:155], v[156:157], v[154:155]
	v_fma_f64 v[156:157], v[38:39], s[22:23], v[224:225]
	v_add_f64 v[156:157], v[156:157], v[218:219]
	v_mul_f64 v[218:219], v[100:101], s[44:45]
	v_mul_f64 v[100:101], v[100:101], s[40:41]
	s_delay_alu instid0(VALU_DEP_2) | instskip(NEXT) | instid1(VALU_DEP_1)
	v_fma_f64 v[226:227], v[36:37], s[4:5], v[218:219]
	v_add_f64 v[156:157], v[226:227], v[156:157]
	v_mul_f64 v[226:227], v[112:113], s[24:25]
	s_delay_alu instid0(VALU_DEP_1) | instskip(NEXT) | instid1(VALU_DEP_1)
	v_fma_f64 v[228:229], v[26:27], s[12:13], v[226:227]
	v_add_f64 v[156:157], v[228:229], v[156:157]
	v_mul_f64 v[228:229], v[126:127], s[30:31]
	v_mul_f64 v[126:127], v[126:127], s[54:55]
	s_delay_alu instid0(VALU_DEP_2) | instskip(NEXT) | instid1(VALU_DEP_1)
	v_fma_f64 v[230:231], v[30:31], s[18:19], -v[228:229]
	v_add_f64 v[154:155], v[230:231], v[154:155]
	v_mul_f64 v[230:231], v[120:121], s[30:31]
	v_mul_f64 v[120:121], v[120:121], s[54:55]
	s_delay_alu instid0(VALU_DEP_2) | instskip(NEXT) | instid1(VALU_DEP_1)
	v_fma_f64 v[232:233], v[24:25], s[18:19], v[230:231]
	v_add_f64 v[156:157], v[232:233], v[156:157]
	v_mul_f64 v[232:233], v[130:131], s[54:55]
	v_mul_f64 v[130:131], v[130:131], s[10:11]
	s_delay_alu instid0(VALU_DEP_2) | instskip(NEXT) | instid1(VALU_DEP_1)
	v_fma_f64 v[202:203], v[28:29], s[16:17], -v[232:233]
	v_add_f64 v[154:155], v[202:203], v[154:155]
	v_mul_f64 v[202:203], v[124:125], s[54:55]
	v_mul_f64 v[124:125], v[124:125], s[10:11]
	s_delay_alu instid0(VALU_DEP_2) | instskip(NEXT) | instid1(VALU_DEP_1)
	;; [unrolled: 10-line block ×3, first 2 shown]
	v_fma_f64 v[208:209], v[16:17], s[26:27], v[206:207]
	v_add_f64 v[208:209], v[208:209], v[156:157]
	v_fma_f64 v[156:157], v[34:35], s[14:15], -v[50:51]
	v_fma_f64 v[50:51], v[34:35], s[14:15], v[50:51]
	s_delay_alu instid0(VALU_DEP_2) | instskip(SKIP_2) | instid1(VALU_DEP_2)
	v_add_f64 v[156:157], v[156:157], v[154:155]
	v_fma_f64 v[154:155], v[98:99], s[14:15], v[66:67]
	v_fma_f64 v[66:67], v[98:99], s[14:15], -v[66:67]
	v_add_f64 v[154:155], v[154:155], v[208:209]
	v_mul_f64 v[208:209], v[110:111], s[34:35]
	s_delay_alu instid0(VALU_DEP_1) | instskip(NEXT) | instid1(VALU_DEP_1)
	v_fma_f64 v[110:111], v[22:23], s[20:21], -v[208:209]
	v_add_f64 v[110:111], v[110:111], v[216:217]
	v_fma_f64 v[216:217], v[38:39], s[20:21], v[78:79]
	v_fma_f64 v[78:79], v[38:39], s[20:21], -v[78:79]
	s_delay_alu instid0(VALU_DEP_2) | instskip(SKIP_2) | instid1(VALU_DEP_2)
	v_add_f64 v[194:195], v[216:217], v[194:195]
	v_fma_f64 v[216:217], v[20:21], s[26:27], -v[114:115]
	v_fma_f64 v[114:115], v[20:21], s[26:27], v[114:115]
	v_add_f64 v[110:111], v[216:217], v[110:111]
	v_fma_f64 v[216:217], v[36:37], s[26:27], v[100:101]
	v_fma_f64 v[100:101], v[36:37], s[26:27], -v[100:101]
	s_delay_alu instid0(VALU_DEP_2) | instskip(SKIP_1) | instid1(VALU_DEP_1)
	v_add_f64 v[194:195], v[216:217], v[194:195]
	v_fma_f64 v[216:217], v[42:43], s[22:23], -v[122:123]
	v_add_f64 v[110:111], v[216:217], v[110:111]
	v_mul_f64 v[216:217], v[112:113], s[48:49]
	s_delay_alu instid0(VALU_DEP_1) | instskip(NEXT) | instid1(VALU_DEP_1)
	v_fma_f64 v[112:113], v[26:27], s[22:23], v[216:217]
	v_add_f64 v[112:113], v[112:113], v[194:195]
	v_fma_f64 v[194:195], v[30:31], s[16:17], -v[126:127]
	s_delay_alu instid0(VALU_DEP_1) | instskip(SKIP_1) | instid1(VALU_DEP_1)
	v_add_f64 v[110:111], v[194:195], v[110:111]
	v_fma_f64 v[194:195], v[24:25], s[16:17], v[120:121]
	v_add_f64 v[112:113], v[194:195], v[112:113]
	v_fma_f64 v[194:195], v[28:29], s[4:5], -v[130:131]
	s_delay_alu instid0(VALU_DEP_1) | instskip(SKIP_1) | instid1(VALU_DEP_1)
	v_add_f64 v[110:111], v[194:195], v[110:111]
	;; [unrolled: 5-line block ×4, first 2 shown]
	v_fma_f64 v[110:111], v[98:99], s[12:13], v[132:133]
	v_add_f64 v[110:111], v[110:111], v[194:195]
	v_fma_f64 v[194:195], v[22:23], s[20:21], v[208:209]
	scratch_load_b64 v[208:209], off, off offset:84 ; 8-byte Folded Reload
	s_waitcnt vmcnt(0)
	v_add_f64 v[194:195], v[194:195], v[208:209]
	scratch_load_b64 v[208:209], off, off offset:76 ; 8-byte Folded Reload
	v_add_f64 v[114:115], v[114:115], v[194:195]
	s_waitcnt vmcnt(0)
	v_add_f64 v[78:79], v[78:79], v[208:209]
	s_delay_alu instid0(VALU_DEP_1) | instskip(SKIP_1) | instid1(VALU_DEP_1)
	v_add_f64 v[78:79], v[100:101], v[78:79]
	v_fma_f64 v[100:101], v[42:43], s[22:23], v[122:123]
	v_add_f64 v[100:101], v[100:101], v[114:115]
	v_fma_f64 v[114:115], v[26:27], s[22:23], -v[216:217]
	s_delay_alu instid0(VALU_DEP_1) | instskip(SKIP_1) | instid1(VALU_DEP_1)
	v_add_f64 v[78:79], v[114:115], v[78:79]
	v_fma_f64 v[114:115], v[30:31], s[16:17], v[126:127]
	v_add_f64 v[100:101], v[114:115], v[100:101]
	v_fma_f64 v[114:115], v[24:25], s[16:17], -v[120:121]
	v_fma_f64 v[120:121], v[98:99], s[12:13], -v[132:133]
	s_delay_alu instid0(VALU_DEP_2) | instskip(SKIP_1) | instid1(VALU_DEP_1)
	v_add_f64 v[78:79], v[114:115], v[78:79]
	v_fma_f64 v[114:115], v[28:29], s[4:5], v[130:131]
	v_add_f64 v[100:101], v[114:115], v[100:101]
	v_fma_f64 v[114:115], v[18:19], s[4:5], -v[124:125]
	s_delay_alu instid0(VALU_DEP_1) | instskip(SKIP_1) | instid1(VALU_DEP_1)
	v_add_f64 v[78:79], v[114:115], v[78:79]
	v_fma_f64 v[114:115], v[32:33], s[18:19], v[134:135]
	v_add_f64 v[100:101], v[114:115], v[100:101]
	v_fma_f64 v[114:115], v[16:17], s[18:19], -v[128:129]
	s_delay_alu instid0(VALU_DEP_1) | instskip(SKIP_1) | instid1(VALU_DEP_2)
	v_add_f64 v[78:79], v[114:115], v[78:79]
	v_fma_f64 v[114:115], v[34:35], s[12:13], v[138:139]
	v_add_f64 v[120:121], v[120:121], v[78:79]
	s_delay_alu instid0(VALU_DEP_2)
	v_add_f64 v[122:123], v[114:115], v[100:101]
	s_clause 0x1
	scratch_load_b64 v[100:101], off, off offset:68
	scratch_load_b64 v[114:115], off, off offset:60
	v_fma_f64 v[78:79], v[22:23], s[22:23], v[192:193]
	s_waitcnt vmcnt(1)
	s_delay_alu instid0(VALU_DEP_1) | instskip(SKIP_2) | instid1(VALU_DEP_1)
	v_add_f64 v[78:79], v[78:79], v[100:101]
	v_fma_f64 v[100:101], v[38:39], s[22:23], -v[224:225]
	s_waitcnt vmcnt(0)
	v_add_f64 v[100:101], v[100:101], v[114:115]
	v_fma_f64 v[114:115], v[20:21], s[4:5], v[220:221]
	s_delay_alu instid0(VALU_DEP_1) | instskip(SKIP_1) | instid1(VALU_DEP_1)
	v_add_f64 v[78:79], v[114:115], v[78:79]
	v_fma_f64 v[114:115], v[36:37], s[4:5], -v[218:219]
	v_add_f64 v[100:101], v[114:115], v[100:101]
	v_fma_f64 v[114:115], v[42:43], s[12:13], v[222:223]
	s_delay_alu instid0(VALU_DEP_1) | instskip(SKIP_1) | instid1(VALU_DEP_1)
	v_add_f64 v[78:79], v[114:115], v[78:79]
	v_fma_f64 v[114:115], v[26:27], s[12:13], -v[226:227]
	;; [unrolled: 5-line block ×4, first 2 shown]
	v_add_f64 v[100:101], v[114:115], v[100:101]
	v_fma_f64 v[114:115], v[32:33], s[26:27], v[204:205]
	s_delay_alu instid0(VALU_DEP_1) | instskip(SKIP_1) | instid1(VALU_DEP_2)
	v_add_f64 v[78:79], v[114:115], v[78:79]
	v_fma_f64 v[114:115], v[16:17], s[26:27], -v[206:207]
	v_add_f64 v[126:127], v[50:51], v[78:79]
	scratch_load_b64 v[50:51], off, off offset:44 ; 8-byte Folded Reload
	v_add_f64 v[100:101], v[114:115], v[100:101]
	s_delay_alu instid0(VALU_DEP_1) | instskip(SKIP_4) | instid1(VALU_DEP_1)
	v_add_f64 v[124:125], v[66:67], v[100:101]
	s_waitcnt vmcnt(0)
	v_add_f64 v[50:51], v[50:51], v[56:57]
	scratch_load_b64 v[56:57], off, off offset:52 ; 8-byte Folded Reload
	v_add_f64 v[50:51], v[50:51], v[64:65]
	v_add_f64 v[50:51], v[50:51], v[74:75]
	s_delay_alu instid0(VALU_DEP_1) | instskip(SKIP_4) | instid1(VALU_DEP_1)
	v_add_f64 v[50:51], v[50:51], v[82:83]
	s_waitcnt vmcnt(0)
	v_add_f64 v[56:57], v[56:57], v[46:47]
	scratch_load_b64 v[46:47], off, off offset:20 ; 8-byte Folded Reload
	v_add_f64 v[56:57], v[56:57], v[60:61]
	v_add_f64 v[56:57], v[56:57], v[80:81]
	s_delay_alu instid0(VALU_DEP_1) | instskip(NEXT) | instid1(VALU_DEP_1)
	v_add_f64 v[56:57], v[56:57], v[88:89]
	v_add_f64 v[56:57], v[56:57], v[94:95]
	s_delay_alu instid0(VALU_DEP_1) | instskip(NEXT) | instid1(VALU_DEP_1)
	;; [unrolled: 3-line block ×5, first 2 shown]
	v_add_f64 v[40:41], v[40:41], v[118:119]
	v_add_f64 v[40:41], v[40:41], v[52:53]
	v_fma_f64 v[52:53], v[98:99], s[4:5], -v[190:191]
	s_delay_alu instid0(VALU_DEP_2) | instskip(SKIP_3) | instid1(VALU_DEP_1)
	v_add_f64 v[40:41], v[40:41], v[48:49]
	scratch_load_b64 v[48:49], off, off offset:36 ; 8-byte Folded Reload
	s_waitcnt vmcnt(1)
	v_add_f64 v[50:51], v[50:51], v[46:47]
	v_add_f64 v[50:51], v[50:51], v[96:97]
	s_delay_alu instid0(VALU_DEP_1) | instskip(NEXT) | instid1(VALU_DEP_1)
	v_add_f64 v[50:51], v[50:51], v[108:109]
	v_add_f64 v[50:51], v[50:51], v[104:105]
	s_delay_alu instid0(VALU_DEP_1) | instskip(NEXT) | instid1(VALU_DEP_1)
	;; [unrolled: 3-line block ×3, first 2 shown]
	v_add_f64 v[50:51], v[50:51], v[76:77]
	v_add_f64 v[46:47], v[50:51], v[44:45]
	scratch_load_b64 v[50:51], off, off offset:28 ; 8-byte Folded Reload
	v_add_f64 v[44:45], v[46:47], v[54:55]
	s_delay_alu instid0(VALU_DEP_1) | instskip(NEXT) | instid1(VALU_DEP_1)
	v_add_f64 v[44:45], v[44:45], v[254:255]
	v_add_f64 v[46:47], v[44:45], v[212:213]
	;; [unrolled: 1-line block ×3, first 2 shown]
	v_fma_f64 v[40:41], v[22:23], s[18:19], v[164:165]
	v_fma_f64 v[22:23], v[22:23], s[4:5], v[136:137]
	v_add_nc_u32_e32 v137, 0x110, v70
	v_add_nc_u32_e32 v136, 0x44, v70
	s_waitcnt vmcnt(1)
	s_delay_alu instid0(VALU_DEP_4) | instskip(SKIP_3) | instid1(VALU_DEP_2)
	v_add_f64 v[40:41], v[40:41], v[48:49]
	v_fma_f64 v[48:49], v[38:39], s[18:19], -v[168:169]
	v_fma_f64 v[38:39], v[38:39], s[4:5], -v[144:145]
	s_waitcnt vmcnt(0)
	v_add_f64 v[48:49], v[48:49], v[50:51]
	v_fma_f64 v[50:51], v[20:21], s[20:21], v[166:167]
	v_fma_f64 v[20:21], v[20:21], s[12:13], v[196:197]
	s_delay_alu instid0(VALU_DEP_2) | instskip(SKIP_2) | instid1(VALU_DEP_2)
	v_add_f64 v[40:41], v[50:51], v[40:41]
	v_fma_f64 v[50:51], v[36:37], s[20:21], -v[170:171]
	v_fma_f64 v[36:37], v[36:37], s[12:13], -v[198:199]
	v_add_f64 v[48:49], v[50:51], v[48:49]
	v_fma_f64 v[50:51], v[42:43], s[26:27], v[172:173]
	s_delay_alu instid0(VALU_DEP_1) | instskip(SKIP_1) | instid1(VALU_DEP_1)
	v_add_f64 v[40:41], v[50:51], v[40:41]
	v_fma_f64 v[50:51], v[26:27], s[26:27], -v[174:175]
	v_add_f64 v[48:49], v[50:51], v[48:49]
	v_fma_f64 v[50:51], v[30:31], s[12:13], v[176:177]
	v_fma_f64 v[30:31], v[30:31], s[20:21], v[214:215]
	s_delay_alu instid0(VALU_DEP_2) | instskip(SKIP_2) | instid1(VALU_DEP_2)
	v_add_f64 v[40:41], v[50:51], v[40:41]
	v_fma_f64 v[50:51], v[24:25], s[12:13], -v[178:179]
	v_fma_f64 v[24:25], v[24:25], s[20:21], -v[246:247]
	v_add_f64 v[48:49], v[50:51], v[48:49]
	v_fma_f64 v[50:51], v[28:29], s[22:23], v[180:181]
	s_delay_alu instid0(VALU_DEP_1) | instskip(SKIP_2) | instid1(VALU_DEP_2)
	v_add_f64 v[40:41], v[50:51], v[40:41]
	v_fma_f64 v[50:51], v[18:19], s[22:23], -v[182:183]
	v_fma_f64 v[18:19], v[18:19], s[14:15], -v[58:59]
	v_add_f64 v[48:49], v[50:51], v[48:49]
	v_fma_f64 v[50:51], v[32:33], s[14:15], v[184:185]
	s_delay_alu instid0(VALU_DEP_1) | instskip(SKIP_2) | instid1(VALU_DEP_2)
	v_add_f64 v[40:41], v[50:51], v[40:41]
	v_fma_f64 v[50:51], v[16:17], s[14:15], -v[186:187]
	v_fma_f64 v[16:17], v[16:17], s[22:23], -v[160:161]
	v_add_f64 v[48:49], v[50:51], v[48:49]
	v_fma_f64 v[50:51], v[34:35], s[4:5], v[188:189]
	s_delay_alu instid0(VALU_DEP_2) | instskip(NEXT) | instid1(VALU_DEP_2)
	v_add_f64 v[48:49], v[52:53], v[48:49]
	v_add_f64 v[50:51], v[50:51], v[40:41]
	scratch_load_b64 v[40:41], off, off offset:12 ; 8-byte Folded Reload
	s_waitcnt vmcnt(0)
	v_add_f64 v[22:23], v[22:23], v[40:41]
	scratch_load_b64 v[40:41], off, off offset:4 ; 8-byte Folded Reload
	v_add_f64 v[20:21], v[20:21], v[22:23]
	v_fma_f64 v[22:23], v[26:27], s[16:17], -v[210:211]
	s_waitcnt vmcnt(0)
	v_add_f64 v[38:39], v[38:39], v[40:41]
	v_fma_f64 v[40:41], v[42:43], s[16:17], v[200:201]
	s_delay_alu instid0(VALU_DEP_2) | instskip(NEXT) | instid1(VALU_DEP_2)
	v_add_f64 v[26:27], v[36:37], v[38:39]
	v_add_f64 v[20:21], v[40:41], v[20:21]
	s_delay_alu instid0(VALU_DEP_2) | instskip(SKIP_1) | instid1(VALU_DEP_3)
	v_add_f64 v[22:23], v[22:23], v[26:27]
	v_fma_f64 v[26:27], v[28:29], s[14:15], v[248:249]
	v_add_f64 v[20:21], v[30:31], v[20:21]
	s_delay_alu instid0(VALU_DEP_3) | instskip(SKIP_1) | instid1(VALU_DEP_3)
	v_add_f64 v[22:23], v[24:25], v[22:23]
	v_fma_f64 v[24:25], v[32:33], s[22:23], v[158:159]
	v_add_f64 v[20:21], v[26:27], v[20:21]
	s_delay_alu instid0(VALU_DEP_3) | instskip(SKIP_1) | instid1(VALU_DEP_3)
	v_add_f64 v[18:19], v[18:19], v[22:23]
	v_fma_f64 v[22:23], v[34:35], s[18:19], v[62:63]
	v_add_f64 v[20:21], v[24:25], v[20:21]
	v_fma_f64 v[24:25], v[98:99], s[18:19], -v[162:163]
	scratch_load_b32 v162, off, off         ; 4-byte Folded Reload
	v_add_f64 v[16:17], v[16:17], v[18:19]
	v_add_f64 v[18:19], v[22:23], v[20:21]
	v_lshrrev_b32_e32 v20, 1, v70
	v_and_b32_e32 v21, 1, v70
	s_delay_alu instid0(VALU_DEP_2) | instskip(NEXT) | instid1(VALU_DEP_1)
	v_mul_u32_u24_e32 v20, 34, v20
	v_or_b32_e32 v20, v20, v21
	s_delay_alu instid0(VALU_DEP_1) | instskip(NEXT) | instid1(VALU_DEP_1)
	v_lshlrev_b32_e32 v20, 4, v20
	v_add3_u32 v20, 0, v20, v250
	ds_store_b128 v20, v[44:47]
	ds_store_b128 v20, v[234:237] offset:32
	ds_store_b128 v20, v[146:149] offset:64
	v_add_nc_u32_e32 v147, 0x88, v70
	ds_store_b128 v20, v[140:143] offset:96
	v_add_nc_u32_e32 v143, 0x154, v70
	v_add_nc_u32_e32 v142, 0x198, v70
	;; [unrolled: 1-line block ×4, first 2 shown]
	v_add_f64 v[16:17], v[24:25], v[16:17]
	ds_store_b128 v20, v[150:153] offset:128
	ds_store_b128 v20, v[154:157] offset:160
	;; [unrolled: 1-line block ×13, first 2 shown]
.LBB0_26:
	s_or_b32 exec_lo, exec_lo, s33
	s_waitcnt vmcnt(0) lgkmcnt(0)
	s_waitcnt_vscnt null, 0x0
	s_barrier
	buffer_gl0_inv
	ds_load_b128 v[8:11], v253
	ds_load_b128 v[12:15], v71 offset:1088
	ds_load_b128 v[36:39], v71 offset:9248
	ds_load_b128 v[40:43], v71 offset:10336
	ds_load_b128 v[20:23], v71 offset:2176
	ds_load_b128 v[16:19], v71 offset:3264
	ds_load_b128 v[44:47], v71 offset:11424
	ds_load_b128 v[48:51], v71 offset:12512
	ds_load_b128 v[28:31], v71 offset:4352
	ds_load_b128 v[24:27], v71 offset:5440
	ds_load_b128 v[60:63], v71 offset:8160
	ds_load_b128 v[32:35], v71 offset:6528
	ds_load_b128 v[56:59], v71 offset:13600
	ds_load_b128 v[52:55], v71 offset:14688
	s_and_saveexec_b32 s1, s0
	s_cbranch_execz .LBB0_28
; %bb.27:
	ds_load_b128 v[0:3], v71 offset:7616
	ds_load_b128 v[4:7], v71 offset:15776
.LBB0_28:
	s_or_b32 exec_lo, exec_lo, s1
	v_dual_mov_b32 v65, 0 :: v_dual_and_b32 v64, 0xff, v136
	v_and_b32_e32 v66, 0xff, v147
	v_and_b32_e32 v74, 0xffff, v140
	v_subrev_nc_u32_e32 v67, 34, v70
	s_delay_alu instid0(VALU_DEP_4)
	v_mul_lo_u16 v75, 0xf1, v64
	v_and_b32_e32 v76, 0xffff, v137
	v_and_b32_e32 v77, 0xffff, v143
	v_mul_lo_u16 v79, 0xf1, v66
	v_mul_u32_u24_e32 v74, 0xf0f1, v74
	v_and_b32_e32 v78, 0xffff, v142
	v_lshrrev_b16 v117, 13, v75
	v_cndmask_b32_e64 v64, v67, v70, s0
	v_mul_u32_u24_e32 v67, 0xf0f1, v76
	v_mul_u32_u24_e32 v77, 0xf0f1, v77
	v_lshrrev_b16 v118, 13, v79
	v_lshrrev_b32_e32 v119, 21, v74
	v_mul_lo_u16 v80, v117, 34
	v_mul_u32_u24_e32 v78, 0xf0f1, v78
	v_lshrrev_b32_e32 v120, 21, v67
	v_lshrrev_b32_e32 v121, 21, v77
	v_mul_lo_u16 v77, v118, 34
	v_mul_lo_u16 v83, v119, 34
	v_sub_nc_u16 v79, v136, v80
	v_lshrrev_b32_e32 v122, 21, v78
	v_lshlrev_b64 v[75:76], 4, v[64:65]
	v_mul_lo_u16 v84, v120, 34
	v_sub_nc_u16 v85, v147, v77
	v_mul_lo_u16 v86, v121, 34
	v_sub_nc_u16 v83, v140, v83
	v_and_b32_e32 v78, 0xff, v79
	v_mul_lo_u16 v87, v122, 34
	v_add_co_u32 v75, s1, s8, v75
	v_sub_nc_u16 v84, v137, v84
	v_and_b32_e32 v85, 0xff, v85
	v_add_co_ci_u32_e64 v76, s1, s9, v76, s1
	v_sub_nc_u16 v86, v143, v86
	v_and_b32_e32 v83, 0xffff, v83
	v_lshlrev_b32_e32 v123, 4, v78
	v_sub_nc_u16 v87, v142, v87
	v_and_b32_e32 v84, 0xffff, v84
	v_lshlrev_b32_e32 v124, 4, v85
	s_clause 0x1
	global_load_b128 v[75:78], v[75:76], off offset:512
	global_load_b128 v[79:82], v123, s[8:9] offset:512
	v_and_b32_e32 v88, 0xffff, v86
	v_lshlrev_b32_e32 v125, 4, v83
	v_and_b32_e32 v91, 0xffff, v87
	v_lshlrev_b32_e32 v126, 4, v84
	global_load_b128 v[83:86], v124, s[8:9] offset:512
	v_lshlrev_b32_e32 v127, 4, v88
	global_load_b128 v[87:90], v125, s[8:9] offset:512
	v_lshlrev_b32_e32 v128, 4, v91
	s_clause 0x2
	global_load_b128 v[91:94], v126, s[8:9] offset:512
	global_load_b128 v[95:98], v127, s[8:9] offset:512
	;; [unrolled: 1-line block ×3, first 2 shown]
	v_cmp_lt_u32_e64 s1, 33, v70
	s_waitcnt vmcnt(0) lgkmcnt(0)
	s_barrier
	buffer_gl0_inv
	v_mul_f64 v[103:104], v[62:63], v[77:78]
	v_mul_f64 v[77:78], v[60:61], v[77:78]
	;; [unrolled: 1-line block ×14, first 2 shown]
	v_fma_f64 v[60:61], v[60:61], v[75:76], v[103:104]
	v_fma_f64 v[62:63], v[62:63], v[75:76], -v[77:78]
	v_fma_f64 v[75:76], v[36:37], v[79:80], v[105:106]
	v_fma_f64 v[77:78], v[38:39], v[79:80], -v[81:82]
	;; [unrolled: 2-line block ×7, first 2 shown]
	v_add_f64 v[36:37], v[8:9], -v[60:61]
	v_add_f64 v[38:39], v[10:11], -v[62:63]
	;; [unrolled: 1-line block ×14, first 2 shown]
	v_cndmask_b32_e64 v79, 0, 0x440, s1
	v_mad_u32_u24 v80, 0x440, v121, 0
	v_mad_u32_u24 v81, 0x440, v122, 0
	s_delay_alu instid0(VALU_DEP_2) | instskip(NEXT) | instid1(VALU_DEP_2)
	v_add3_u32 v80, v80, v127, v250
	v_add3_u32 v81, v81, v128, v250
	v_fma_f64 v[75:76], v[8:9], 2.0, -v[36:37]
	v_fma_f64 v[77:78], v[10:11], 2.0, -v[38:39]
	v_fma_f64 v[9:10], v[12:13], 2.0, -v[40:41]
	v_fma_f64 v[11:12], v[14:15], 2.0, -v[42:43]
	v_lshlrev_b32_e32 v8, 1, v70
	v_fma_f64 v[20:21], v[20:21], 2.0, -v[44:45]
	v_fma_f64 v[22:23], v[22:23], 2.0, -v[46:47]
	;; [unrolled: 1-line block ×10, first 2 shown]
	v_add_nc_u32_e32 v17, 0, v79
	v_lshlrev_b32_e32 v18, 4, v64
	v_and_b32_e32 v19, 0xffff, v118
	v_mad_u32_u24 v64, 0x440, v119, 0
	v_mad_u32_u24 v79, 0x440, v120, 0
	s_delay_alu instid0(VALU_DEP_4) | instskip(SKIP_4) | instid1(VALU_DEP_4)
	v_add3_u32 v17, v17, v18, v250
	v_and_b32_e32 v18, 0xffff, v117
	v_mad_u32_u24 v19, 0x440, v19, 0
	v_add3_u32 v64, v64, v125, v250
	v_add3_u32 v79, v79, v126, v250
	v_mad_u32_u24 v18, 0x440, v18, 0
	s_delay_alu instid0(VALU_DEP_4) | instskip(NEXT) | instid1(VALU_DEP_2)
	v_add3_u32 v19, v19, v124, v250
	v_add3_u32 v18, v18, v123, v250
	ds_store_b128 v17, v[75:78]
	ds_store_b128 v17, v[36:39] offset:544
	ds_store_b128 v18, v[9:12]
	ds_store_b128 v18, v[40:43] offset:544
	;; [unrolled: 2-line block ×7, first 2 shown]
	s_and_saveexec_b32 s1, s0
	s_cbranch_execz .LBB0_30
; %bb.29:
	v_and_b32_e32 v9, 0xffff, v141
	s_delay_alu instid0(VALU_DEP_1) | instskip(NEXT) | instid1(VALU_DEP_1)
	v_mul_u32_u24_e32 v9, 0xf0f1, v9
	v_lshrrev_b32_e32 v9, 21, v9
	s_delay_alu instid0(VALU_DEP_1) | instskip(NEXT) | instid1(VALU_DEP_1)
	v_mul_lo_u16 v9, v9, 34
	v_sub_nc_u16 v9, v141, v9
	s_delay_alu instid0(VALU_DEP_1) | instskip(NEXT) | instid1(VALU_DEP_1)
	v_and_b32_e32 v9, 0xffff, v9
	v_lshlrev_b32_e32 v15, 4, v9
	global_load_b128 v[9:12], v15, s[8:9] offset:512
	s_waitcnt vmcnt(0)
	v_mul_f64 v[13:14], v[4:5], v[11:12]
	v_mul_f64 v[11:12], v[6:7], v[11:12]
	s_delay_alu instid0(VALU_DEP_2) | instskip(NEXT) | instid1(VALU_DEP_2)
	v_fma_f64 v[6:7], v[6:7], v[9:10], -v[13:14]
	v_fma_f64 v[4:5], v[4:5], v[9:10], v[11:12]
	v_add3_u32 v9, 0, v15, v250
	s_delay_alu instid0(VALU_DEP_3) | instskip(NEXT) | instid1(VALU_DEP_3)
	v_add_f64 v[6:7], v[2:3], -v[6:7]
	v_add_f64 v[4:5], v[0:1], -v[4:5]
	s_delay_alu instid0(VALU_DEP_2) | instskip(NEXT) | instid1(VALU_DEP_2)
	v_fma_f64 v[2:3], v[2:3], 2.0, -v[6:7]
	v_fma_f64 v[0:1], v[0:1], 2.0, -v[4:5]
	ds_store_b128 v9, v[0:3] offset:15232
	ds_store_b128 v9, v[4:7] offset:15776
.LBB0_30:
	s_or_b32 exec_lo, exec_lo, s1
	v_lshrrev_b32_e32 v0, 22, v74
	v_mul_lo_u16 v2, 0x79, v66
	v_lshrrev_b32_e32 v3, 22, v67
	s_waitcnt lgkmcnt(0)
	s_barrier
	v_mul_lo_u16 v4, 0x44, v0
	v_lshrrev_b16 v2, 13, v2
	v_mul_lo_u16 v3, 0x44, v3
	buffer_gl0_inv
	s_mov_b32 s5, 0x3febb67a
	v_sub_nc_u16 v4, v140, v4
	v_mov_b32_e32 v9, v65
	s_mov_b32 s11, 0x3fee6f0e
	s_delay_alu instid0(VALU_DEP_1) | instskip(NEXT) | instid1(VALU_DEP_1)
	v_lshlrev_b64 v[0:1], 4, v[8:9]
	v_add_co_u32 v7, s0, s8, v0
	v_and_b32_e32 v0, 0xffff, v4
	s_delay_alu instid0(VALU_DEP_3)
	v_add_co_ci_u32_e64 v8, s0, s9, v1, s0
	v_mul_lo_u16 v1, 0x44, v2
	v_sub_nc_u16 v2, v137, v3
	s_clause 0x1
	global_load_b128 v[3:6], v[7:8], off offset:1072
	global_load_b128 v[7:10], v[7:8], off offset:1056
	v_lshlrev_b32_e32 v15, 5, v0
	v_sub_nc_u16 v1, v147, v1
	v_and_b32_e32 v2, 0xffff, v2
	s_mov_b32 s0, 0xe8584caa
	s_mov_b32 s1, 0xbfebb67a
	global_load_b128 v[11:14], v15, s[8:9] offset:1056
	v_and_b32_e32 v1, 0xff, v1
	v_lshlrev_b32_e32 v23, 5, v2
	global_load_b128 v[15:18], v15, s[8:9] offset:1072
	s_mov_b32 s4, s0
	v_lshlrev_b32_e32 v0, 4, v0
	v_lshlrev_b32_e32 v31, 5, v1
	s_clause 0x3
	global_load_b128 v[19:22], v23, s[8:9] offset:1056
	global_load_b128 v[23:26], v23, s[8:9] offset:1072
	;; [unrolled: 1-line block ×4, first 2 shown]
	ds_load_b128 v[35:38], v71 offset:5440
	ds_load_b128 v[39:42], v71 offset:10880
	;; [unrolled: 1-line block ×11, first 2 shown]
	v_lshlrev_b32_e32 v2, 4, v2
	v_lshlrev_b32_e32 v1, 4, v1
	v_add3_u32 v0, 0, v0, v250
	s_delay_alu instid0(VALU_DEP_3) | instskip(NEXT) | instid1(VALU_DEP_3)
	v_add3_u32 v2, 0, v2, v250
	v_add3_u32 v1, 0, v1, v250
	s_waitcnt vmcnt(7) lgkmcnt(9)
	v_mul_f64 v[90:91], v[41:42], v[5:6]
	s_waitcnt vmcnt(6)
	v_mul_f64 v[63:64], v[37:38], v[9:10]
	v_mul_f64 v[66:67], v[35:36], v[9:10]
	;; [unrolled: 1-line block ×3, first 2 shown]
	s_waitcnt lgkmcnt(8)
	v_mul_f64 v[94:95], v[45:46], v[9:10]
	v_mul_f64 v[9:10], v[43:44], v[9:10]
	s_waitcnt lgkmcnt(7)
	v_mul_f64 v[96:97], v[49:50], v[5:6]
	v_mul_f64 v[5:6], v[47:48], v[5:6]
	s_waitcnt vmcnt(5) lgkmcnt(6)
	v_mul_f64 v[98:99], v[53:54], v[13:14]
	v_mul_f64 v[13:14], v[51:52], v[13:14]
	s_waitcnt vmcnt(4) lgkmcnt(5)
	;; [unrolled: 3-line block ×3, first 2 shown]
	v_mul_f64 v[102:103], v[61:62], v[21:22]
	s_waitcnt vmcnt(2) lgkmcnt(3)
	v_mul_f64 v[104:105], v[76:77], v[25:26]
	v_mul_f64 v[21:22], v[59:60], v[21:22]
	;; [unrolled: 1-line block ×3, first 2 shown]
	s_waitcnt vmcnt(1) lgkmcnt(2)
	v_mul_f64 v[106:107], v[80:81], v[29:30]
	s_waitcnt vmcnt(0) lgkmcnt(1)
	v_mul_f64 v[108:109], v[84:85], v[33:34]
	v_mul_f64 v[29:30], v[78:79], v[29:30]
	;; [unrolled: 1-line block ×3, first 2 shown]
	v_fma_f64 v[39:40], v[39:40], v[3:4], v[90:91]
	v_fma_f64 v[35:36], v[35:36], v[7:8], v[63:64]
	v_fma_f64 v[37:38], v[37:38], v[7:8], -v[66:67]
	v_fma_f64 v[41:42], v[41:42], v[3:4], -v[92:93]
	v_fma_f64 v[43:44], v[43:44], v[7:8], v[94:95]
	v_fma_f64 v[45:46], v[45:46], v[7:8], -v[9:10]
	v_fma_f64 v[47:48], v[47:48], v[3:4], v[96:97]
	;; [unrolled: 2-line block ×4, first 2 shown]
	v_fma_f64 v[66:67], v[57:58], v[15:16], -v[17:18]
	ds_load_b128 v[3:6], v253
	ds_load_b128 v[11:14], v71 offset:3264
	v_fma_f64 v[57:58], v[59:60], v[19:20], v[102:103]
	v_fma_f64 v[59:60], v[74:75], v[23:24], v[104:105]
	v_fma_f64 v[19:20], v[61:62], v[19:20], -v[21:22]
	v_fma_f64 v[21:22], v[76:77], v[23:24], -v[25:26]
	v_fma_f64 v[23:24], v[78:79], v[27:28], v[106:107]
	v_fma_f64 v[25:26], v[82:83], v[31:32], v[108:109]
	v_fma_f64 v[27:28], v[80:81], v[27:28], -v[29:30]
	v_fma_f64 v[29:30], v[84:85], v[31:32], -v[33:34]
	ds_load_b128 v[7:10], v71 offset:1088
	ds_load_b128 v[15:18], v71 offset:2176
	s_waitcnt lgkmcnt(0)
	s_barrier
	buffer_gl0_inv
	v_add_f64 v[31:32], v[35:36], v[39:40]
	v_add_f64 v[90:91], v[3:4], v[35:36]
	v_add_f64 v[33:34], v[37:38], v[41:42]
	v_add_f64 v[92:93], v[37:38], -v[41:42]
	v_add_f64 v[37:38], v[5:6], v[37:38]
	v_add_f64 v[61:62], v[43:44], v[47:48]
	v_add_f64 v[63:64], v[45:46], v[49:50]
	v_add_f64 v[35:36], v[35:36], -v[39:40]
	v_add_f64 v[94:95], v[7:8], v[43:44]
	v_add_f64 v[74:75], v[51:52], v[55:56]
	;; [unrolled: 1-line block ×4, first 2 shown]
	v_add_f64 v[45:46], v[45:46], -v[49:50]
	v_add_f64 v[43:44], v[43:44], -v[47:48]
	v_add_f64 v[78:79], v[57:58], v[59:60]
	v_add_f64 v[102:103], v[88:89], v[19:20]
	;; [unrolled: 1-line block ×8, first 2 shown]
	v_add_f64 v[110:111], v[53:54], -v[66:67]
	v_add_f64 v[51:52], v[51:52], -v[55:56]
	v_add_f64 v[100:101], v[86:87], v[57:58]
	v_add_f64 v[112:113], v[19:20], -v[21:22]
	v_add_f64 v[57:58], v[57:58], -v[59:60]
	v_fma_f64 v[31:32], v[31:32], -0.5, v[3:4]
	v_add_f64 v[3:4], v[90:91], v[39:40]
	v_fma_f64 v[33:34], v[33:34], -0.5, v[5:6]
	v_add_f64 v[5:6], v[37:38], v[41:42]
	v_fma_f64 v[61:62], v[61:62], -0.5, v[7:8]
	v_fma_f64 v[108:109], v[63:64], -0.5, v[9:10]
	v_lshlrev_b32_e32 v64, 2, v70
	v_add_f64 v[7:8], v[94:95], v[47:48]
	v_fma_f64 v[74:75], v[74:75], -0.5, v[11:12]
	v_fma_f64 v[76:77], v[76:77], -0.5, v[13:14]
	v_add_f64 v[13:14], v[13:14], v[53:54]
	v_add_f64 v[9:10], v[96:97], v[49:50]
	v_fma_f64 v[78:79], v[78:79], -0.5, v[86:87]
	v_add_f64 v[86:87], v[27:28], -v[29:30]
	v_fma_f64 v[80:81], v[80:81], -0.5, v[88:89]
	v_add_f64 v[88:89], v[23:24], -v[25:26]
	v_fma_f64 v[82:83], v[82:83], -0.5, v[15:16]
	v_add_f64 v[19:20], v[104:105], v[25:26]
	v_fma_f64 v[84:85], v[84:85], -0.5, v[17:18]
	v_add_f64 v[17:18], v[102:103], v[21:22]
	v_add_f64 v[21:22], v[106:107], v[29:30]
	;; [unrolled: 1-line block ×4, first 2 shown]
	v_fma_f64 v[23:24], v[92:93], s[0:1], v[31:32]
	v_fma_f64 v[27:28], v[92:93], s[4:5], v[31:32]
	;; [unrolled: 1-line block ×12, first 2 shown]
	v_add_f64 v[13:14], v[13:14], v[66:67]
	v_fma_f64 v[47:48], v[112:113], s[0:1], v[78:79]
	v_fma_f64 v[51:52], v[112:113], s[4:5], v[78:79]
	;; [unrolled: 1-line block ×8, first 2 shown]
	v_lshlrev_b64 v[66:67], 4, v[64:65]
	v_lshlrev_b32_e32 v64, 2, v136
	s_mov_b32 s5, 0x3fe2cf23
	ds_store_b128 v71, v[3:6]
	ds_store_b128 v71, v[23:26] offset:1088
	ds_store_b128 v71, v[27:30] offset:2176
	;; [unrolled: 1-line block ×14, first 2 shown]
	v_lshlrev_b64 v[74:75], 4, v[64:65]
	v_lshlrev_b32_e32 v64, 2, v147
	v_add_co_u32 v66, s0, s8, v66
	s_delay_alu instid0(VALU_DEP_1) | instskip(NEXT) | instid1(VALU_DEP_3)
	v_add_co_ci_u32_e64 v67, s0, s9, v67, s0
	v_lshlrev_b64 v[24:25], 4, v[64:65]
	v_add_co_u32 v28, s0, s8, v74
	s_delay_alu instid0(VALU_DEP_1)
	v_add_co_ci_u32_e64 v29, s0, s9, v75, s0
	s_waitcnt lgkmcnt(0)
	s_barrier
	buffer_gl0_inv
	s_clause 0x1
	global_load_b128 v[0:3], v[66:67], off offset:3232
	global_load_b128 v[4:7], v[66:67], off offset:3248
	v_add_co_u32 v44, s0, s8, v24
	s_clause 0x3
	global_load_b128 v[8:11], v[66:67], off offset:3264
	global_load_b128 v[12:15], v[66:67], off offset:3280
	global_load_b128 v[16:19], v[28:29], off offset:3248
	global_load_b128 v[20:23], v[28:29], off offset:3232
	v_add_co_ci_u32_e64 v45, s0, s9, v25, s0
	s_clause 0x5
	global_load_b128 v[24:27], v[28:29], off offset:3264
	global_load_b128 v[28:31], v[28:29], off offset:3280
	;; [unrolled: 1-line block ×6, first 2 shown]
	ds_load_b128 v[48:51], v71 offset:3264
	ds_load_b128 v[52:55], v71 offset:6528
	ds_load_b128 v[56:59], v71 offset:9792
	ds_load_b128 v[60:63], v71 offset:13056
	ds_load_b128 v[64:67], v71 offset:4352
	ds_load_b128 v[74:77], v71 offset:7616
	ds_load_b128 v[78:81], v71 offset:10880
	ds_load_b128 v[82:85], v71 offset:14144
	ds_load_b128 v[86:89], v71 offset:2176
	ds_load_b128 v[90:93], v71 offset:5440
	ds_load_b128 v[94:97], v71 offset:8704
	ds_load_b128 v[98:101], v71 offset:11968
	ds_load_b128 v[102:105], v71 offset:15232
	s_mov_b32 s8, 0x134454ff
	s_mov_b32 s9, 0xbfee6f0e
	;; [unrolled: 1-line block ×6, first 2 shown]
	s_waitcnt vmcnt(11) lgkmcnt(12)
	v_mul_f64 v[106:107], v[50:51], v[2:3]
	v_mul_f64 v[2:3], v[48:49], v[2:3]
	s_waitcnt vmcnt(10) lgkmcnt(11)
	v_mul_f64 v[108:109], v[54:55], v[6:7]
	v_mul_f64 v[6:7], v[52:53], v[6:7]
	;; [unrolled: 3-line block ×5, first 2 shown]
	s_waitcnt lgkmcnt(7)
	v_mul_f64 v[116:117], v[76:77], v[18:19]
	v_mul_f64 v[18:19], v[74:75], v[18:19]
	s_waitcnt vmcnt(5) lgkmcnt(6)
	v_mul_f64 v[118:119], v[80:81], v[26:27]
	v_mul_f64 v[26:27], v[78:79], v[26:27]
	s_waitcnt vmcnt(4) lgkmcnt(5)
	;; [unrolled: 3-line block ×6, first 2 shown]
	v_mul_f64 v[128:129], v[104:105], v[46:47]
	v_mul_f64 v[46:47], v[102:103], v[46:47]
	v_fma_f64 v[48:49], v[48:49], v[0:1], v[106:107]
	v_fma_f64 v[50:51], v[50:51], v[0:1], -v[2:3]
	v_fma_f64 v[52:53], v[52:53], v[4:5], v[108:109]
	v_fma_f64 v[54:55], v[54:55], v[4:5], -v[6:7]
	;; [unrolled: 2-line block ×12, first 2 shown]
	ds_load_b128 v[0:3], v253
	ds_load_b128 v[4:7], v71 offset:1088
	s_waitcnt lgkmcnt(0)
	s_barrier
	buffer_gl0_inv
	v_add_f64 v[76:77], v[48:49], -v[52:53]
	v_add_f64 v[84:85], v[52:53], -v[48:49]
	v_add_f64 v[46:47], v[52:53], v[56:57]
	v_add_f64 v[64:65], v[54:55], v[8:9]
	;; [unrolled: 1-line block ×12, first 2 shown]
	v_add_f64 v[62:63], v[50:51], -v[12:13]
	v_add_f64 v[66:67], v[54:55], -v[8:9]
	;; [unrolled: 1-line block ×4, first 2 shown]
	v_add_f64 v[98:99], v[34:35], v[38:39]
	v_add_f64 v[100:101], v[36:37], v[40:41]
	;; [unrolled: 1-line block ×4, first 2 shown]
	v_add_f64 v[106:107], v[52:53], -v[56:57]
	v_add_f64 v[108:109], v[50:51], -v[54:55]
	;; [unrolled: 1-line block ×3, first 2 shown]
	v_add_f64 v[132:133], v[86:87], v[30:31]
	v_add_f64 v[48:49], v[48:49], -v[10:11]
	v_add_f64 v[50:51], v[54:55], -v[50:51]
	;; [unrolled: 1-line block ×5, first 2 shown]
	v_add_f64 v[134:135], v[88:89], v[32:33]
	v_add_f64 v[116:117], v[20:21], -v[28:29]
	v_add_f64 v[120:121], v[14:15], -v[22:23]
	;; [unrolled: 1-line block ×8, first 2 shown]
	v_fma_f64 v[46:47], v[46:47], -0.5, v[0:1]
	v_fma_f64 v[64:65], v[64:65], -0.5, v[2:3]
	;; [unrolled: 1-line block ×4, first 2 shown]
	v_add_f64 v[20:21], v[16:17], -v[20:21]
	v_add_f64 v[74:75], v[24:25], -v[28:29]
	v_add_f64 v[52:53], v[58:59], v[52:53]
	v_add_f64 v[54:55], v[96:97], v[54:55]
	v_fma_f64 v[78:79], v[78:79], -0.5, v[4:5]
	v_add_f64 v[22:23], v[114:115], v[22:23]
	v_fma_f64 v[4:5], v[82:83], -0.5, v[4:5]
	v_fma_f64 v[90:91], v[90:91], -0.5, v[6:7]
	;; [unrolled: 1-line block ×3, first 2 shown]
	v_add_f64 v[82:83], v[36:37], -v[40:41]
	v_add_f64 v[16:17], v[128:129], v[16:17]
	v_add_f64 v[122:123], v[26:27], -v[18:19]
	v_fma_f64 v[98:99], v[98:99], -0.5, v[86:87]
	v_fma_f64 v[100:101], v[100:101], -0.5, v[88:89]
	;; [unrolled: 1-line block ×4, first 2 shown]
	v_add_f64 v[126:127], v[18:19], -v[26:27]
	v_add_f64 v[92:93], v[30:31], -v[34:35]
	;; [unrolled: 1-line block ×6, first 2 shown]
	v_add_f64 v[58:59], v[76:77], v[80:81]
	v_add_f64 v[76:77], v[84:85], v[94:95]
	;; [unrolled: 1-line block ×6, first 2 shown]
	v_add_f64 v[60:61], v[28:29], -v[24:25]
	v_add_f64 v[102:103], v[42:43], -v[38:39]
	;; [unrolled: 1-line block ×4, first 2 shown]
	v_fma_f64 v[84:85], v[62:63], s[8:9], v[46:47]
	v_fma_f64 v[46:47], v[62:63], s[10:11], v[46:47]
	v_fma_f64 v[94:95], v[66:67], s[10:11], v[0:1]
	v_fma_f64 v[108:109], v[106:107], s[8:9], v[2:3]
	v_fma_f64 v[0:1], v[66:67], s[8:9], v[0:1]
	v_fma_f64 v[96:97], v[48:49], s[10:11], v[64:65]
	v_fma_f64 v[64:65], v[48:49], s[8:9], v[64:65]
	v_fma_f64 v[2:3], v[106:107], s[10:11], v[2:3]
	v_fma_f64 v[110:111], v[116:117], s[8:9], v[78:79]
	v_fma_f64 v[78:79], v[116:117], s[10:11], v[78:79]
	v_fma_f64 v[112:113], v[118:119], s[10:11], v[4:5]
	v_fma_f64 v[114:115], v[130:131], s[8:9], v[90:91]
	v_fma_f64 v[128:129], v[14:15], s[10:11], v[6:7]
	v_fma_f64 v[6:7], v[14:15], s[8:9], v[6:7]
	v_fma_f64 v[90:91], v[130:131], s[10:11], v[90:91]
	v_fma_f64 v[4:5], v[118:119], s[8:9], v[4:5]
	v_fma_f64 v[132:133], v[138:139], s[8:9], v[98:99]
	v_fma_f64 v[134:135], v[140:141], s[10:11], v[100:101]
	v_fma_f64 v[98:99], v[138:139], s[10:11], v[98:99]
	v_fma_f64 v[150:151], v[82:83], s[10:11], v[86:87]
	v_fma_f64 v[152:153], v[142:143], s[8:9], v[88:89]
	v_fma_f64 v[86:87], v[82:83], s[8:9], v[86:87]
	v_fma_f64 v[88:89], v[142:143], s[10:11], v[88:89]
	v_fma_f64 v[100:101], v[140:141], s[8:9], v[100:101]
	v_add_f64 v[74:75], v[20:21], v[74:75]
	v_add_f64 v[20:21], v[52:53], v[56:57]
	;; [unrolled: 1-line block ×14, first 2 shown]
	v_fma_f64 v[30:31], v[66:67], s[0:1], v[84:85]
	v_fma_f64 v[32:33], v[66:67], s[4:5], v[46:47]
	;; [unrolled: 1-line block ×24, first 2 shown]
	s_mov_b32 s0, 0x372fe950
	s_mov_b32 s1, 0x3fd3c6ef
	v_add_f64 v[0:1], v[20:21], v[10:11]
	v_add_f64 v[2:3], v[8:9], v[12:13]
	;; [unrolled: 1-line block ×6, first 2 shown]
	v_fma_f64 v[12:13], v[58:59], s[0:1], v[30:31]
	v_fma_f64 v[16:17], v[58:59], s[0:1], v[32:33]
	;; [unrolled: 1-line block ×24, first 2 shown]
	ds_store_b128 v71, v[0:3]
	ds_store_b128 v71, v[4:7] offset:1088
	ds_store_b128 v71, v[20:23] offset:6528
	ds_store_b128 v71, v[36:39] offset:7616
	ds_store_b128 v71, v[16:19] offset:13056
	ds_store_b128 v71, v[32:35] offset:14144
	ds_store_b128 v71, v[12:15] offset:3264
	ds_store_b128 v71, v[8:11] offset:2176
	ds_store_b128 v71, v[28:31] offset:4352
	ds_store_b128 v71, v[44:47] offset:5440
	ds_store_b128 v71, v[24:27] offset:9792
	ds_store_b128 v71, v[52:55] offset:8704
	ds_store_b128 v71, v[40:43] offset:10880
	ds_store_b128 v71, v[56:59] offset:11968
	ds_store_b128 v71, v[48:51] offset:15232
	s_waitcnt lgkmcnt(0)
	s_barrier
	buffer_gl0_inv
	s_and_saveexec_b32 s0, vcc_lo
	s_cbranch_execz .LBB0_32
; %bb.31:
	v_mul_lo_u32 v2, s3, v72
	v_mul_lo_u32 v3, s2, v73
	v_mad_u64_u32 v[0:1], null, s2, v72, 0
	v_lshl_add_u32 v28, v70, 4, v162
	v_dual_mov_b32 v71, 0 :: v_dual_add_nc_u32 v12, 0x44, v70
	v_lshlrev_b64 v[8:9], 4, v[68:69]
	v_add_nc_u32_e32 v22, 0x154, v70
	s_delay_alu instid0(VALU_DEP_3) | instskip(SKIP_4) | instid1(VALU_DEP_4)
	v_dual_mov_b32 v25, v71 :: v_dual_add_nc_u32 v24, 0x198, v70
	v_add3_u32 v1, v1, v3, v2
	v_mov_b32_e32 v13, v71
	v_lshlrev_b64 v[14:15], 4, v[70:71]
	v_mov_b32_e32 v23, v71
	v_lshlrev_b64 v[10:11], 4, v[0:1]
	ds_load_b128 v[0:3], v28
	ds_load_b128 v[4:7], v28 offset:1088
	v_lshlrev_b64 v[22:23], 4, v[22:23]
	v_add_co_u32 v10, vcc_lo, s6, v10
	v_add_co_ci_u32_e32 v11, vcc_lo, s7, v11, vcc_lo
	s_delay_alu instid0(VALU_DEP_2) | instskip(NEXT) | instid1(VALU_DEP_2)
	v_add_co_u32 v30, vcc_lo, v10, v8
	v_add_co_ci_u32_e32 v31, vcc_lo, v11, v9, vcc_lo
	v_lshlrev_b64 v[8:9], 4, v[12:13]
	v_add_nc_u32_e32 v12, 0x88, v70
	s_delay_alu instid0(VALU_DEP_4) | instskip(NEXT) | instid1(VALU_DEP_4)
	v_add_co_u32 v10, vcc_lo, v30, v14
	v_add_co_ci_u32_e32 v11, vcc_lo, v31, v15, vcc_lo
	s_delay_alu instid0(VALU_DEP_4)
	v_add_co_u32 v8, vcc_lo, v30, v8
	v_add_co_ci_u32_e32 v9, vcc_lo, v31, v9, vcc_lo
	s_waitcnt lgkmcnt(1)
	global_store_b128 v[10:11], v[0:3], off
	s_waitcnt lgkmcnt(0)
	global_store_b128 v[8:9], v[4:7], off
	v_lshlrev_b64 v[0:1], 4, v[12:13]
	v_dual_mov_b32 v9, v71 :: v_dual_add_nc_u32 v8, 0xcc, v70
	v_dual_mov_b32 v11, v71 :: v_dual_add_nc_u32 v10, 0x110, v70
	s_delay_alu instid0(VALU_DEP_3) | instskip(NEXT) | instid1(VALU_DEP_4)
	v_add_co_u32 v16, vcc_lo, v30, v0
	v_add_co_ci_u32_e32 v17, vcc_lo, v31, v1, vcc_lo
	ds_load_b128 v[0:3], v28 offset:2176
	ds_load_b128 v[4:7], v28 offset:3264
	v_lshlrev_b64 v[18:19], 4, v[8:9]
	v_lshlrev_b64 v[20:21], 4, v[10:11]
	ds_load_b128 v[8:11], v28 offset:4352
	ds_load_b128 v[12:15], v28 offset:5440
	v_add_co_u32 v18, vcc_lo, v30, v18
	v_add_co_ci_u32_e32 v19, vcc_lo, v31, v19, vcc_lo
	v_add_co_u32 v20, vcc_lo, v30, v20
	v_add_co_ci_u32_e32 v21, vcc_lo, v31, v21, vcc_lo
	;; [unrolled: 2-line block ×3, first 2 shown]
	s_waitcnt lgkmcnt(3)
	global_store_b128 v[16:17], v[0:3], off
	s_waitcnt lgkmcnt(2)
	global_store_b128 v[18:19], v[4:7], off
	;; [unrolled: 2-line block ×4, first 2 shown]
	v_lshlrev_b64 v[0:1], 4, v[24:25]
	v_dual_mov_b32 v9, v71 :: v_dual_add_nc_u32 v8, 0x1dc, v70
	v_dual_mov_b32 v11, v71 :: v_dual_add_nc_u32 v10, 0x220, v70
	;; [unrolled: 1-line block ×3, first 2 shown]
	s_delay_alu instid0(VALU_DEP_4)
	v_add_co_u32 v16, vcc_lo, v30, v0
	v_add_co_ci_u32_e32 v17, vcc_lo, v31, v1, vcc_lo
	ds_load_b128 v[0:3], v28 offset:6528
	ds_load_b128 v[4:7], v28 offset:7616
	v_lshlrev_b64 v[18:19], 4, v[8:9]
	v_lshlrev_b64 v[20:21], 4, v[10:11]
	ds_load_b128 v[8:11], v28 offset:8704
	ds_load_b128 v[12:15], v28 offset:9792
	v_lshlrev_b64 v[22:23], 4, v[22:23]
	v_add_nc_u32_e32 v24, 0x2a8, v70
	v_add_co_u32 v18, vcc_lo, v30, v18
	v_add_co_ci_u32_e32 v19, vcc_lo, v31, v19, vcc_lo
	v_add_co_u32 v20, vcc_lo, v30, v20
	v_add_co_ci_u32_e32 v21, vcc_lo, v31, v21, vcc_lo
	v_add_co_u32 v22, vcc_lo, v30, v22
	s_waitcnt lgkmcnt(3)
	global_store_b128 v[16:17], v[0:3], off
	s_waitcnt lgkmcnt(2)
	global_store_b128 v[18:19], v[4:7], off
	v_dual_mov_b32 v3, v71 :: v_dual_add_nc_u32 v2, 0x2ec, v70
	v_add_co_ci_u32_e32 v23, vcc_lo, v31, v23, vcc_lo
	v_lshlrev_b64 v[0:1], 4, v[24:25]
	s_waitcnt lgkmcnt(1)
	global_store_b128 v[20:21], v[8:11], off
	s_waitcnt lgkmcnt(0)
	global_store_b128 v[22:23], v[12:15], off
	v_mov_b32_e32 v11, v71
	v_lshlrev_b64 v[8:9], 4, v[2:3]
	v_add_nc_u32_e32 v10, 0x330, v70
	v_add_co_u32 v20, vcc_lo, v30, v0
	v_add_co_ci_u32_e32 v21, vcc_lo, v31, v1, vcc_lo
	s_delay_alu instid0(VALU_DEP_4)
	v_add_co_u32 v22, vcc_lo, v30, v8
	ds_load_b128 v[0:3], v28 offset:10880
	ds_load_b128 v[4:7], v28 offset:11968
	v_add_co_ci_u32_e32 v23, vcc_lo, v31, v9, vcc_lo
	v_lshlrev_b64 v[26:27], 4, v[10:11]
	ds_load_b128 v[8:11], v28 offset:13056
	ds_load_b128 v[12:15], v28 offset:14144
	;; [unrolled: 1-line block ×3, first 2 shown]
	v_add_nc_u32_e32 v24, 0x374, v70
	v_add_nc_u32_e32 v70, 0x3b8, v70
	v_add_co_u32 v26, vcc_lo, v30, v26
	s_delay_alu instid0(VALU_DEP_3) | instskip(NEXT) | instid1(VALU_DEP_3)
	v_lshlrev_b64 v[24:25], 4, v[24:25]
	v_lshlrev_b64 v[28:29], 4, v[70:71]
	v_add_co_ci_u32_e32 v27, vcc_lo, v31, v27, vcc_lo
	s_delay_alu instid0(VALU_DEP_3) | instskip(NEXT) | instid1(VALU_DEP_4)
	v_add_co_u32 v24, vcc_lo, v30, v24
	v_add_co_ci_u32_e32 v25, vcc_lo, v31, v25, vcc_lo
	s_delay_alu instid0(VALU_DEP_4)
	v_add_co_u32 v28, vcc_lo, v30, v28
	v_add_co_ci_u32_e32 v29, vcc_lo, v31, v29, vcc_lo
	s_waitcnt lgkmcnt(4)
	global_store_b128 v[20:21], v[0:3], off
	s_waitcnt lgkmcnt(3)
	global_store_b128 v[22:23], v[4:7], off
	;; [unrolled: 2-line block ×5, first 2 shown]
.LBB0_32:
	s_nop 0
	s_sendmsg sendmsg(MSG_DEALLOC_VGPRS)
	s_endpgm
	.section	.rodata,"a",@progbits
	.p2align	6, 0x0
	.amdhsa_kernel fft_rtc_back_len1020_factors_2_17_2_3_5_wgs_204_tpt_68_halfLds_dp_op_CI_CI_unitstride_sbrr_C2R_dirReg
		.amdhsa_group_segment_fixed_size 0
		.amdhsa_private_segment_fixed_size 144
		.amdhsa_kernarg_size 104
		.amdhsa_user_sgpr_count 15
		.amdhsa_user_sgpr_dispatch_ptr 0
		.amdhsa_user_sgpr_queue_ptr 0
		.amdhsa_user_sgpr_kernarg_segment_ptr 1
		.amdhsa_user_sgpr_dispatch_id 0
		.amdhsa_user_sgpr_private_segment_size 0
		.amdhsa_wavefront_size32 1
		.amdhsa_uses_dynamic_stack 0
		.amdhsa_enable_private_segment 1
		.amdhsa_system_sgpr_workgroup_id_x 1
		.amdhsa_system_sgpr_workgroup_id_y 0
		.amdhsa_system_sgpr_workgroup_id_z 0
		.amdhsa_system_sgpr_workgroup_info 0
		.amdhsa_system_vgpr_workitem_id 0
		.amdhsa_next_free_vgpr 256
		.amdhsa_next_free_sgpr 58
		.amdhsa_reserve_vcc 1
		.amdhsa_float_round_mode_32 0
		.amdhsa_float_round_mode_16_64 0
		.amdhsa_float_denorm_mode_32 3
		.amdhsa_float_denorm_mode_16_64 3
		.amdhsa_dx10_clamp 1
		.amdhsa_ieee_mode 1
		.amdhsa_fp16_overflow 0
		.amdhsa_workgroup_processor_mode 1
		.amdhsa_memory_ordered 1
		.amdhsa_forward_progress 0
		.amdhsa_shared_vgpr_count 0
		.amdhsa_exception_fp_ieee_invalid_op 0
		.amdhsa_exception_fp_denorm_src 0
		.amdhsa_exception_fp_ieee_div_zero 0
		.amdhsa_exception_fp_ieee_overflow 0
		.amdhsa_exception_fp_ieee_underflow 0
		.amdhsa_exception_fp_ieee_inexact 0
		.amdhsa_exception_int_div_zero 0
	.end_amdhsa_kernel
	.text
.Lfunc_end0:
	.size	fft_rtc_back_len1020_factors_2_17_2_3_5_wgs_204_tpt_68_halfLds_dp_op_CI_CI_unitstride_sbrr_C2R_dirReg, .Lfunc_end0-fft_rtc_back_len1020_factors_2_17_2_3_5_wgs_204_tpt_68_halfLds_dp_op_CI_CI_unitstride_sbrr_C2R_dirReg
                                        ; -- End function
	.section	.AMDGPU.csdata,"",@progbits
; Kernel info:
; codeLenInByte = 18868
; NumSgprs: 60
; NumVgprs: 256
; ScratchSize: 144
; MemoryBound: 0
; FloatMode: 240
; IeeeMode: 1
; LDSByteSize: 0 bytes/workgroup (compile time only)
; SGPRBlocks: 7
; VGPRBlocks: 31
; NumSGPRsForWavesPerEU: 60
; NumVGPRsForWavesPerEU: 256
; Occupancy: 5
; WaveLimiterHint : 1
; COMPUTE_PGM_RSRC2:SCRATCH_EN: 1
; COMPUTE_PGM_RSRC2:USER_SGPR: 15
; COMPUTE_PGM_RSRC2:TRAP_HANDLER: 0
; COMPUTE_PGM_RSRC2:TGID_X_EN: 1
; COMPUTE_PGM_RSRC2:TGID_Y_EN: 0
; COMPUTE_PGM_RSRC2:TGID_Z_EN: 0
; COMPUTE_PGM_RSRC2:TIDIG_COMP_CNT: 0
	.text
	.p2alignl 7, 3214868480
	.fill 96, 4, 3214868480
	.type	__hip_cuid_305efdb522195283,@object ; @__hip_cuid_305efdb522195283
	.section	.bss,"aw",@nobits
	.globl	__hip_cuid_305efdb522195283
__hip_cuid_305efdb522195283:
	.byte	0                               ; 0x0
	.size	__hip_cuid_305efdb522195283, 1

	.ident	"AMD clang version 19.0.0git (https://github.com/RadeonOpenCompute/llvm-project roc-6.4.0 25133 c7fe45cf4b819c5991fe208aaa96edf142730f1d)"
	.section	".note.GNU-stack","",@progbits
	.addrsig
	.addrsig_sym __hip_cuid_305efdb522195283
	.amdgpu_metadata
---
amdhsa.kernels:
  - .args:
      - .actual_access:  read_only
        .address_space:  global
        .offset:         0
        .size:           8
        .value_kind:     global_buffer
      - .offset:         8
        .size:           8
        .value_kind:     by_value
      - .actual_access:  read_only
        .address_space:  global
        .offset:         16
        .size:           8
        .value_kind:     global_buffer
      - .actual_access:  read_only
        .address_space:  global
        .offset:         24
        .size:           8
        .value_kind:     global_buffer
      - .actual_access:  read_only
        .address_space:  global
        .offset:         32
        .size:           8
        .value_kind:     global_buffer
      - .offset:         40
        .size:           8
        .value_kind:     by_value
      - .actual_access:  read_only
        .address_space:  global
        .offset:         48
        .size:           8
        .value_kind:     global_buffer
      - .actual_access:  read_only
        .address_space:  global
        .offset:         56
        .size:           8
        .value_kind:     global_buffer
      - .offset:         64
        .size:           4
        .value_kind:     by_value
      - .actual_access:  read_only
        .address_space:  global
        .offset:         72
        .size:           8
        .value_kind:     global_buffer
      - .actual_access:  read_only
        .address_space:  global
        .offset:         80
        .size:           8
        .value_kind:     global_buffer
      - .actual_access:  read_only
        .address_space:  global
        .offset:         88
        .size:           8
        .value_kind:     global_buffer
      - .actual_access:  write_only
        .address_space:  global
        .offset:         96
        .size:           8
        .value_kind:     global_buffer
    .group_segment_fixed_size: 0
    .kernarg_segment_align: 8
    .kernarg_segment_size: 104
    .language:       OpenCL C
    .language_version:
      - 2
      - 0
    .max_flat_workgroup_size: 204
    .name:           fft_rtc_back_len1020_factors_2_17_2_3_5_wgs_204_tpt_68_halfLds_dp_op_CI_CI_unitstride_sbrr_C2R_dirReg
    .private_segment_fixed_size: 144
    .sgpr_count:     60
    .sgpr_spill_count: 0
    .symbol:         fft_rtc_back_len1020_factors_2_17_2_3_5_wgs_204_tpt_68_halfLds_dp_op_CI_CI_unitstride_sbrr_C2R_dirReg.kd
    .uniform_work_group_size: 1
    .uses_dynamic_stack: false
    .vgpr_count:     256
    .vgpr_spill_count: 35
    .wavefront_size: 32
    .workgroup_processor_mode: 1
amdhsa.target:   amdgcn-amd-amdhsa--gfx1100
amdhsa.version:
  - 1
  - 2
...

	.end_amdgpu_metadata
